;; amdgpu-corpus repo=pytorch/pytorch kind=compiled arch=gfx906 opt=O3
	.amdgcn_target "amdgcn-amd-amdhsa--gfx906"
	.amdhsa_code_object_version 6
	.section	.text._ZN2at6native12_GLOBAL__N_127upsample_linear1d_out_frameIddEEviT0_bN5torch10headeronly6detail27GenericPackedTensorAccessorINS6_14TensorAccessorIN3c108ArrayRefIlEEKT_Lm2ENS5_16DefaultPtrTraitsElEENS_6detail16IndexBoundsCheckILm3ElEESD_Lm3ESE_lEENS7_INS8_ISB_SC_Lm2ESE_lEESI_SC_Lm3ESE_lEE,"axG",@progbits,_ZN2at6native12_GLOBAL__N_127upsample_linear1d_out_frameIddEEviT0_bN5torch10headeronly6detail27GenericPackedTensorAccessorINS6_14TensorAccessorIN3c108ArrayRefIlEEKT_Lm2ENS5_16DefaultPtrTraitsElEENS_6detail16IndexBoundsCheckILm3ElEESD_Lm3ESE_lEENS7_INS8_ISB_SC_Lm2ESE_lEESI_SC_Lm3ESE_lEE,comdat
	.globl	_ZN2at6native12_GLOBAL__N_127upsample_linear1d_out_frameIddEEviT0_bN5torch10headeronly6detail27GenericPackedTensorAccessorINS6_14TensorAccessorIN3c108ArrayRefIlEEKT_Lm2ENS5_16DefaultPtrTraitsElEENS_6detail16IndexBoundsCheckILm3ElEESD_Lm3ESE_lEENS7_INS8_ISB_SC_Lm2ESE_lEESI_SC_Lm3ESE_lEE ; -- Begin function _ZN2at6native12_GLOBAL__N_127upsample_linear1d_out_frameIddEEviT0_bN5torch10headeronly6detail27GenericPackedTensorAccessorINS6_14TensorAccessorIN3c108ArrayRefIlEEKT_Lm2ENS5_16DefaultPtrTraitsElEENS_6detail16IndexBoundsCheckILm3ElEESD_Lm3ESE_lEENS7_INS8_ISB_SC_Lm2ESE_lEESI_SC_Lm3ESE_lEE
	.p2align	8
	.type	_ZN2at6native12_GLOBAL__N_127upsample_linear1d_out_frameIddEEviT0_bN5torch10headeronly6detail27GenericPackedTensorAccessorINS6_14TensorAccessorIN3c108ArrayRefIlEEKT_Lm2ENS5_16DefaultPtrTraitsElEENS_6detail16IndexBoundsCheckILm3ElEESD_Lm3ESE_lEENS7_INS8_ISB_SC_Lm2ESE_lEESI_SC_Lm3ESE_lEE,@function
_ZN2at6native12_GLOBAL__N_127upsample_linear1d_out_frameIddEEviT0_bN5torch10headeronly6detail27GenericPackedTensorAccessorINS6_14TensorAccessorIN3c108ArrayRefIlEEKT_Lm2ENS5_16DefaultPtrTraitsElEENS_6detail16IndexBoundsCheckILm3ElEESD_Lm3ESE_lEENS7_INS8_ISB_SC_Lm2ESE_lEESI_SC_Lm3ESE_lEE: ; @_ZN2at6native12_GLOBAL__N_127upsample_linear1d_out_frameIddEEviT0_bN5torch10headeronly6detail27GenericPackedTensorAccessorINS6_14TensorAccessorIN3c108ArrayRefIlEEKT_Lm2ENS5_16DefaultPtrTraitsElEENS_6detail16IndexBoundsCheckILm3ElEESD_Lm3ESE_lEENS7_INS8_ISB_SC_Lm2ESE_lEESI_SC_Lm3ESE_lEE
; %bb.0:
	s_load_dword s0, s[4:5], 0x94
	s_load_dword s1, s[4:5], 0x0
	s_waitcnt lgkmcnt(0)
	s_and_b32 s0, s0, 0xffff
	s_mul_i32 s6, s6, s0
	v_add_u32_e32 v0, s6, v0
	v_cmp_gt_i32_e32 vcc, s1, v0
	s_and_saveexec_b64 s[0:1], vcc
	s_cbranch_execz .LBB0_19
; %bb.1:
	s_load_dword s0, s[4:5], 0x68
	s_load_dword s6, s[4:5], 0x30
	s_load_dwordx4 s[16:19], s[4:5], 0x20
	v_sub_u32_e32 v3, 0, v0
	v_max_i32_e32 v3, v0, v3
	s_waitcnt lgkmcnt(0)
	s_abs_i32 s1, s0
	v_cvt_f32_u32_e32 v1, s1
	s_sub_i32 s2, 0, s1
	v_ashrrev_i32_e32 v0, 31, v0
	s_cmp_lg_u32 s6, s0
	v_rcp_iflag_f32_e32 v1, v1
	v_mul_f32_e32 v1, 0x4f7ffffe, v1
	v_cvt_u32_f32_e32 v1, v1
	v_mul_lo_u32 v2, s2, v1
	v_mul_hi_u32 v2, v1, v2
	v_add_u32_e32 v1, v1, v2
	v_mul_hi_u32 v1, v3, v1
	v_mul_lo_u32 v1, v1, s1
	v_sub_u32_e32 v1, v3, v1
	v_subrev_u32_e32 v2, s1, v1
	v_cmp_le_u32_e32 vcc, s1, v1
	v_cndmask_b32_e32 v1, v1, v2, vcc
	v_subrev_u32_e32 v2, s1, v1
	v_cmp_le_u32_e32 vcc, s1, v1
	v_cndmask_b32_e32 v1, v1, v2, vcc
	v_xor_b32_e32 v1, v1, v0
	v_sub_u32_e32 v8, v1, v0
	s_mov_b64 s[0:1], -1
	s_cbranch_scc0 .LBB0_13
; %bb.2:
	s_load_dword s2, s[4:5], 0x10
	s_load_dwordx2 s[0:1], s[4:5], 0x8
	v_cvt_f64_i32_e32 v[2:3], v8
	s_waitcnt lgkmcnt(0)
	s_bitcmp0_b32 s2, 0
	s_cbranch_scc0 .LBB0_4
; %bb.3:
	v_add_f64 v[0:1], v[2:3], 0.5
	v_fma_f64 v[0:1], s[0:1], v[0:1], -0.5
	v_cmp_ngt_f64_e32 vcc, 0, v[0:1]
	v_cndmask_b32_e32 v1, 0, v1, vcc
	v_cndmask_b32_e32 v0, 0, v0, vcc
	s_cbranch_execz .LBB0_5
	s_branch .LBB0_6
.LBB0_4:
                                        ; implicit-def: $vgpr0_vgpr1
.LBB0_5:
	v_mul_f64 v[0:1], s[0:1], v[2:3]
.LBB0_6:
	s_cmp_lt_i32 s16, 1
	s_cbranch_scc1 .LBB0_12
; %bb.7:
	v_cvt_i32_f64_e32 v6, v[0:1]
	s_load_dwordx2 s[24:25], s[4:5], 0x18
	s_load_dwordx8 s[8:15], s[4:5], 0x38
	s_load_dwordx2 s[2:3], s[4:5], 0x80
	s_load_dwordx4 s[20:23], s[4:5], 0x70
	s_add_i32 s6, s6, -1
	v_cvt_f64_i32_e32 v[2:3], v6
	v_ashrrev_i32_e32 v7, 31, v6
	s_waitcnt lgkmcnt(0)
	v_mul_lo_u32 v9, s3, v8
	v_cmp_gt_i32_e32 vcc, s6, v6
	v_add_f64 v[0:1], v[0:1], -v[2:3]
	v_ashrrev_i32_e32 v2, 31, v8
	v_mul_lo_u32 v10, s2, v2
	v_mad_u64_u32 v[4:5], s[2:3], s2, v8, 0
	v_addc_co_u32_e32 v11, vcc, 0, v6, vcc
	v_add3_u32 v5, v5, v10, v9
	v_mul_lo_u32 v10, s13, v6
	v_mul_lo_u32 v13, s12, v7
	v_mad_u64_u32 v[6:7], s[2:3], s12, v6, 0
	v_ashrrev_i32_e32 v12, 31, v11
	v_lshlrev_b64 v[4:5], 3, v[4:5]
	v_mul_lo_u32 v14, s12, v12
	v_mul_lo_u32 v15, s13, v11
	v_mad_u64_u32 v[11:12], s[12:13], s12, v11, 0
	v_add_f64 v[2:3], -v[0:1], 1.0
	v_add3_u32 v7, v7, v13, v10
	v_mov_b32_e32 v9, s15
	v_add_co_u32_e32 v4, vcc, s14, v4
	v_lshlrev_b64 v[6:7], 3, v[6:7]
	v_addc_co_u32_e32 v5, vcc, v9, v5, vcc
	v_mov_b32_e32 v13, s25
	v_add_co_u32_e32 v9, vcc, s24, v6
	v_add3_u32 v12, v12, v14, v15
	v_addc_co_u32_e32 v10, vcc, v13, v7, vcc
	v_lshlrev_b64 v[6:7], 3, v[11:12]
	s_cmp_gt_i32 s18, 0
	v_add_co_u32_e32 v11, vcc, s24, v6
	s_mov_b32 s17, 0
	s_cselect_b64 s[0:1], -1, 0
	s_lshl_b64 s[2:3], s[20:21], 3
	s_lshl_b64 s[6:7], s[22:23], 3
	;; [unrolled: 1-line block ×4, first 2 shown]
	v_addc_co_u32_e32 v12, vcc, v13, v7, vcc
	s_branch .LBB0_9
.LBB0_8:                                ;   in Loop: Header=BB0_9 Depth=1
	v_mov_b32_e32 v6, s3
	v_add_co_u32_e32 v4, vcc, s2, v4
	v_addc_co_u32_e32 v5, vcc, v5, v6, vcc
	v_mov_b32_e32 v6, s9
	v_add_co_u32_e32 v9, vcc, s8, v9
	v_addc_co_u32_e32 v10, vcc, v10, v6, vcc
	s_add_i32 s17, s17, 1
	v_add_co_u32_e32 v11, vcc, s8, v11
	s_cmp_eq_u32 s17, s16
	v_addc_co_u32_e32 v12, vcc, v12, v6, vcc
	s_cbranch_scc1 .LBB0_12
.LBB0_9:                                ; =>This Loop Header: Depth=1
                                        ;     Child Loop BB0_11 Depth 2
	s_andn2_b64 vcc, exec, s[0:1]
	s_cbranch_vccnz .LBB0_8
; %bb.10:                               ;   in Loop: Header=BB0_9 Depth=1
	v_mov_b32_e32 v7, v5
	s_mov_b64 s[12:13], 0
	v_mov_b32_e32 v6, v4
	s_mov_b32 s14, s18
.LBB0_11:                               ;   Parent Loop BB0_9 Depth=1
                                        ; =>  This Inner Loop Header: Depth=2
	v_mov_b32_e32 v16, s13
	v_add_co_u32_e32 v13, vcc, s12, v11
	v_addc_co_u32_e32 v14, vcc, v12, v16, vcc
	global_load_dwordx2 v[13:14], v[13:14], off
	v_add_co_u32_e32 v15, vcc, s12, v9
	v_addc_co_u32_e32 v16, vcc, v10, v16, vcc
	global_load_dwordx2 v[15:16], v[15:16], off
	s_add_i32 s14, s14, -1
	s_add_u32 s12, s12, s10
	v_mov_b32_e32 v17, s7
	s_addc_u32 s13, s13, s11
	s_cmp_eq_u32 s14, 0
	s_waitcnt vmcnt(1)
	v_mul_f64 v[13:14], v[0:1], v[13:14]
	s_waitcnt vmcnt(0)
	v_fma_f64 v[13:14], v[2:3], v[15:16], v[13:14]
	global_store_dwordx2 v[6:7], v[13:14], off
	v_add_co_u32_e32 v6, vcc, s6, v6
	v_addc_co_u32_e32 v7, vcc, v7, v17, vcc
	s_cbranch_scc0 .LBB0_11
	s_branch .LBB0_8
.LBB0_12:
	s_mov_b64 s[0:1], 0
.LBB0_13:
	s_and_b64 vcc, exec, s[0:1]
	s_cbranch_vccz .LBB0_19
; %bb.14:
	s_cmp_lt_i32 s16, 1
	s_cbranch_scc1 .LBB0_19
; %bb.15:
	s_load_dwordx8 s[8:15], s[4:5], 0x38
	v_ashrrev_i32_e32 v2, 31, v8
	s_load_dwordx2 s[2:3], s[4:5], 0x80
	s_cmp_gt_i32 s18, 0
	s_mov_b32 s17, 0
	s_waitcnt lgkmcnt(0)
	v_mul_lo_u32 v3, s13, v8
	v_mul_lo_u32 v4, s12, v2
	v_mad_u64_u32 v[0:1], s[0:1], s12, v8, 0
	s_load_dwordx2 s[0:1], s[4:5], 0x18
	s_load_dwordx4 s[20:23], s[4:5], 0x70
	v_add3_u32 v1, v1, v4, v3
	v_mul_lo_u32 v5, s3, v8
	v_mul_lo_u32 v6, s2, v2
	v_mad_u64_u32 v[2:3], s[2:3], s2, v8, 0
	v_lshlrev_b64 v[0:1], 3, v[0:1]
	s_waitcnt lgkmcnt(0)
	v_mov_b32_e32 v4, s1
	v_add3_u32 v3, v3, v6, v5
	v_add_co_u32_e32 v0, vcc, s0, v0
	v_lshlrev_b64 v[2:3], 3, v[2:3]
	v_addc_co_u32_e32 v1, vcc, v4, v1, vcc
	s_cselect_b64 s[12:13], -1, 0
	v_mov_b32_e32 v4, s15
	v_add_co_u32_e32 v2, vcc, s14, v2
	v_addc_co_u32_e32 v3, vcc, v4, v3, vcc
	v_cndmask_b32_e64 v4, 0, 1, s[12:13]
	s_lshl_b64 s[2:3], s[20:21], 3
	s_lshl_b64 s[4:5], s[22:23], 3
	;; [unrolled: 1-line block ×4, first 2 shown]
	v_cmp_ne_u32_e64 s[0:1], 1, v4
	s_branch .LBB0_17
.LBB0_16:                               ;   in Loop: Header=BB0_17 Depth=1
	v_mov_b32_e32 v4, s3
	v_add_co_u32_e32 v2, vcc, s2, v2
	v_addc_co_u32_e32 v3, vcc, v3, v4, vcc
	s_add_i32 s17, s17, 1
	v_mov_b32_e32 v4, s7
	v_add_co_u32_e32 v0, vcc, s6, v0
	s_cmp_eq_u32 s17, s16
	v_addc_co_u32_e32 v1, vcc, v1, v4, vcc
	s_cbranch_scc1 .LBB0_19
.LBB0_17:                               ; =>This Loop Header: Depth=1
                                        ;     Child Loop BB0_18 Depth 2
	v_mov_b32_e32 v5, v1
	v_mov_b32_e32 v7, v3
	s_and_b64 vcc, exec, s[0:1]
	v_mov_b32_e32 v4, v0
	v_mov_b32_e32 v6, v2
	s_mov_b32 s10, s18
	s_cbranch_vccnz .LBB0_16
.LBB0_18:                               ;   Parent Loop BB0_17 Depth=1
                                        ; =>  This Inner Loop Header: Depth=2
	global_load_dwordx2 v[8:9], v[4:5], off
	v_mov_b32_e32 v11, s9
	v_add_co_u32_e32 v4, vcc, s8, v4
	v_addc_co_u32_e32 v5, vcc, v5, v11, vcc
	s_add_i32 s10, s10, -1
	v_mov_b32_e32 v10, s5
	s_cmp_eq_u32 s10, 0
	s_waitcnt vmcnt(0)
	global_store_dwordx2 v[6:7], v[8:9], off
	v_add_co_u32_e32 v6, vcc, s4, v6
	v_addc_co_u32_e32 v7, vcc, v7, v10, vcc
	s_cbranch_scc0 .LBB0_18
	s_branch .LBB0_16
.LBB0_19:
	s_endpgm
	.section	.rodata,"a",@progbits
	.p2align	6, 0x0
	.amdhsa_kernel _ZN2at6native12_GLOBAL__N_127upsample_linear1d_out_frameIddEEviT0_bN5torch10headeronly6detail27GenericPackedTensorAccessorINS6_14TensorAccessorIN3c108ArrayRefIlEEKT_Lm2ENS5_16DefaultPtrTraitsElEENS_6detail16IndexBoundsCheckILm3ElEESD_Lm3ESE_lEENS7_INS8_ISB_SC_Lm2ESE_lEESI_SC_Lm3ESE_lEE
		.amdhsa_group_segment_fixed_size 0
		.amdhsa_private_segment_fixed_size 0
		.amdhsa_kernarg_size 392
		.amdhsa_user_sgpr_count 6
		.amdhsa_user_sgpr_private_segment_buffer 1
		.amdhsa_user_sgpr_dispatch_ptr 0
		.amdhsa_user_sgpr_queue_ptr 0
		.amdhsa_user_sgpr_kernarg_segment_ptr 1
		.amdhsa_user_sgpr_dispatch_id 0
		.amdhsa_user_sgpr_flat_scratch_init 0
		.amdhsa_user_sgpr_private_segment_size 0
		.amdhsa_uses_dynamic_stack 0
		.amdhsa_system_sgpr_private_segment_wavefront_offset 0
		.amdhsa_system_sgpr_workgroup_id_x 1
		.amdhsa_system_sgpr_workgroup_id_y 0
		.amdhsa_system_sgpr_workgroup_id_z 0
		.amdhsa_system_sgpr_workgroup_info 0
		.amdhsa_system_vgpr_workitem_id 0
		.amdhsa_next_free_vgpr 18
		.amdhsa_next_free_sgpr 26
		.amdhsa_reserve_vcc 1
		.amdhsa_reserve_flat_scratch 0
		.amdhsa_float_round_mode_32 0
		.amdhsa_float_round_mode_16_64 0
		.amdhsa_float_denorm_mode_32 3
		.amdhsa_float_denorm_mode_16_64 3
		.amdhsa_dx10_clamp 1
		.amdhsa_ieee_mode 1
		.amdhsa_fp16_overflow 0
		.amdhsa_exception_fp_ieee_invalid_op 0
		.amdhsa_exception_fp_denorm_src 0
		.amdhsa_exception_fp_ieee_div_zero 0
		.amdhsa_exception_fp_ieee_overflow 0
		.amdhsa_exception_fp_ieee_underflow 0
		.amdhsa_exception_fp_ieee_inexact 0
		.amdhsa_exception_int_div_zero 0
	.end_amdhsa_kernel
	.section	.text._ZN2at6native12_GLOBAL__N_127upsample_linear1d_out_frameIddEEviT0_bN5torch10headeronly6detail27GenericPackedTensorAccessorINS6_14TensorAccessorIN3c108ArrayRefIlEEKT_Lm2ENS5_16DefaultPtrTraitsElEENS_6detail16IndexBoundsCheckILm3ElEESD_Lm3ESE_lEENS7_INS8_ISB_SC_Lm2ESE_lEESI_SC_Lm3ESE_lEE,"axG",@progbits,_ZN2at6native12_GLOBAL__N_127upsample_linear1d_out_frameIddEEviT0_bN5torch10headeronly6detail27GenericPackedTensorAccessorINS6_14TensorAccessorIN3c108ArrayRefIlEEKT_Lm2ENS5_16DefaultPtrTraitsElEENS_6detail16IndexBoundsCheckILm3ElEESD_Lm3ESE_lEENS7_INS8_ISB_SC_Lm2ESE_lEESI_SC_Lm3ESE_lEE,comdat
.Lfunc_end0:
	.size	_ZN2at6native12_GLOBAL__N_127upsample_linear1d_out_frameIddEEviT0_bN5torch10headeronly6detail27GenericPackedTensorAccessorINS6_14TensorAccessorIN3c108ArrayRefIlEEKT_Lm2ENS5_16DefaultPtrTraitsElEENS_6detail16IndexBoundsCheckILm3ElEESD_Lm3ESE_lEENS7_INS8_ISB_SC_Lm2ESE_lEESI_SC_Lm3ESE_lEE, .Lfunc_end0-_ZN2at6native12_GLOBAL__N_127upsample_linear1d_out_frameIddEEviT0_bN5torch10headeronly6detail27GenericPackedTensorAccessorINS6_14TensorAccessorIN3c108ArrayRefIlEEKT_Lm2ENS5_16DefaultPtrTraitsElEENS_6detail16IndexBoundsCheckILm3ElEESD_Lm3ESE_lEENS7_INS8_ISB_SC_Lm2ESE_lEESI_SC_Lm3ESE_lEE
                                        ; -- End function
	.set _ZN2at6native12_GLOBAL__N_127upsample_linear1d_out_frameIddEEviT0_bN5torch10headeronly6detail27GenericPackedTensorAccessorINS6_14TensorAccessorIN3c108ArrayRefIlEEKT_Lm2ENS5_16DefaultPtrTraitsElEENS_6detail16IndexBoundsCheckILm3ElEESD_Lm3ESE_lEENS7_INS8_ISB_SC_Lm2ESE_lEESI_SC_Lm3ESE_lEE.num_vgpr, 18
	.set _ZN2at6native12_GLOBAL__N_127upsample_linear1d_out_frameIddEEviT0_bN5torch10headeronly6detail27GenericPackedTensorAccessorINS6_14TensorAccessorIN3c108ArrayRefIlEEKT_Lm2ENS5_16DefaultPtrTraitsElEENS_6detail16IndexBoundsCheckILm3ElEESD_Lm3ESE_lEENS7_INS8_ISB_SC_Lm2ESE_lEESI_SC_Lm3ESE_lEE.num_agpr, 0
	.set _ZN2at6native12_GLOBAL__N_127upsample_linear1d_out_frameIddEEviT0_bN5torch10headeronly6detail27GenericPackedTensorAccessorINS6_14TensorAccessorIN3c108ArrayRefIlEEKT_Lm2ENS5_16DefaultPtrTraitsElEENS_6detail16IndexBoundsCheckILm3ElEESD_Lm3ESE_lEENS7_INS8_ISB_SC_Lm2ESE_lEESI_SC_Lm3ESE_lEE.numbered_sgpr, 26
	.set _ZN2at6native12_GLOBAL__N_127upsample_linear1d_out_frameIddEEviT0_bN5torch10headeronly6detail27GenericPackedTensorAccessorINS6_14TensorAccessorIN3c108ArrayRefIlEEKT_Lm2ENS5_16DefaultPtrTraitsElEENS_6detail16IndexBoundsCheckILm3ElEESD_Lm3ESE_lEENS7_INS8_ISB_SC_Lm2ESE_lEESI_SC_Lm3ESE_lEE.num_named_barrier, 0
	.set _ZN2at6native12_GLOBAL__N_127upsample_linear1d_out_frameIddEEviT0_bN5torch10headeronly6detail27GenericPackedTensorAccessorINS6_14TensorAccessorIN3c108ArrayRefIlEEKT_Lm2ENS5_16DefaultPtrTraitsElEENS_6detail16IndexBoundsCheckILm3ElEESD_Lm3ESE_lEENS7_INS8_ISB_SC_Lm2ESE_lEESI_SC_Lm3ESE_lEE.private_seg_size, 0
	.set _ZN2at6native12_GLOBAL__N_127upsample_linear1d_out_frameIddEEviT0_bN5torch10headeronly6detail27GenericPackedTensorAccessorINS6_14TensorAccessorIN3c108ArrayRefIlEEKT_Lm2ENS5_16DefaultPtrTraitsElEENS_6detail16IndexBoundsCheckILm3ElEESD_Lm3ESE_lEENS7_INS8_ISB_SC_Lm2ESE_lEESI_SC_Lm3ESE_lEE.uses_vcc, 1
	.set _ZN2at6native12_GLOBAL__N_127upsample_linear1d_out_frameIddEEviT0_bN5torch10headeronly6detail27GenericPackedTensorAccessorINS6_14TensorAccessorIN3c108ArrayRefIlEEKT_Lm2ENS5_16DefaultPtrTraitsElEENS_6detail16IndexBoundsCheckILm3ElEESD_Lm3ESE_lEENS7_INS8_ISB_SC_Lm2ESE_lEESI_SC_Lm3ESE_lEE.uses_flat_scratch, 0
	.set _ZN2at6native12_GLOBAL__N_127upsample_linear1d_out_frameIddEEviT0_bN5torch10headeronly6detail27GenericPackedTensorAccessorINS6_14TensorAccessorIN3c108ArrayRefIlEEKT_Lm2ENS5_16DefaultPtrTraitsElEENS_6detail16IndexBoundsCheckILm3ElEESD_Lm3ESE_lEENS7_INS8_ISB_SC_Lm2ESE_lEESI_SC_Lm3ESE_lEE.has_dyn_sized_stack, 0
	.set _ZN2at6native12_GLOBAL__N_127upsample_linear1d_out_frameIddEEviT0_bN5torch10headeronly6detail27GenericPackedTensorAccessorINS6_14TensorAccessorIN3c108ArrayRefIlEEKT_Lm2ENS5_16DefaultPtrTraitsElEENS_6detail16IndexBoundsCheckILm3ElEESD_Lm3ESE_lEENS7_INS8_ISB_SC_Lm2ESE_lEESI_SC_Lm3ESE_lEE.has_recursion, 0
	.set _ZN2at6native12_GLOBAL__N_127upsample_linear1d_out_frameIddEEviT0_bN5torch10headeronly6detail27GenericPackedTensorAccessorINS6_14TensorAccessorIN3c108ArrayRefIlEEKT_Lm2ENS5_16DefaultPtrTraitsElEENS_6detail16IndexBoundsCheckILm3ElEESD_Lm3ESE_lEENS7_INS8_ISB_SC_Lm2ESE_lEESI_SC_Lm3ESE_lEE.has_indirect_call, 0
	.section	.AMDGPU.csdata,"",@progbits
; Kernel info:
; codeLenInByte = 1068
; TotalNumSgprs: 30
; NumVgprs: 18
; ScratchSize: 0
; MemoryBound: 0
; FloatMode: 240
; IeeeMode: 1
; LDSByteSize: 0 bytes/workgroup (compile time only)
; SGPRBlocks: 3
; VGPRBlocks: 4
; NumSGPRsForWavesPerEU: 30
; NumVGPRsForWavesPerEU: 18
; Occupancy: 10
; WaveLimiterHint : 1
; COMPUTE_PGM_RSRC2:SCRATCH_EN: 0
; COMPUTE_PGM_RSRC2:USER_SGPR: 6
; COMPUTE_PGM_RSRC2:TRAP_HANDLER: 0
; COMPUTE_PGM_RSRC2:TGID_X_EN: 1
; COMPUTE_PGM_RSRC2:TGID_Y_EN: 0
; COMPUTE_PGM_RSRC2:TGID_Z_EN: 0
; COMPUTE_PGM_RSRC2:TIDIG_COMP_CNT: 0
	.section	.text._ZN2at6native12_GLOBAL__N_127upsample_linear1d_out_frameIffEEviT0_bN5torch10headeronly6detail27GenericPackedTensorAccessorINS6_14TensorAccessorIN3c108ArrayRefIlEEKT_Lm2ENS5_16DefaultPtrTraitsElEENS_6detail16IndexBoundsCheckILm3ElEESD_Lm3ESE_lEENS7_INS8_ISB_SC_Lm2ESE_lEESI_SC_Lm3ESE_lEE,"axG",@progbits,_ZN2at6native12_GLOBAL__N_127upsample_linear1d_out_frameIffEEviT0_bN5torch10headeronly6detail27GenericPackedTensorAccessorINS6_14TensorAccessorIN3c108ArrayRefIlEEKT_Lm2ENS5_16DefaultPtrTraitsElEENS_6detail16IndexBoundsCheckILm3ElEESD_Lm3ESE_lEENS7_INS8_ISB_SC_Lm2ESE_lEESI_SC_Lm3ESE_lEE,comdat
	.globl	_ZN2at6native12_GLOBAL__N_127upsample_linear1d_out_frameIffEEviT0_bN5torch10headeronly6detail27GenericPackedTensorAccessorINS6_14TensorAccessorIN3c108ArrayRefIlEEKT_Lm2ENS5_16DefaultPtrTraitsElEENS_6detail16IndexBoundsCheckILm3ElEESD_Lm3ESE_lEENS7_INS8_ISB_SC_Lm2ESE_lEESI_SC_Lm3ESE_lEE ; -- Begin function _ZN2at6native12_GLOBAL__N_127upsample_linear1d_out_frameIffEEviT0_bN5torch10headeronly6detail27GenericPackedTensorAccessorINS6_14TensorAccessorIN3c108ArrayRefIlEEKT_Lm2ENS5_16DefaultPtrTraitsElEENS_6detail16IndexBoundsCheckILm3ElEESD_Lm3ESE_lEENS7_INS8_ISB_SC_Lm2ESE_lEESI_SC_Lm3ESE_lEE
	.p2align	8
	.type	_ZN2at6native12_GLOBAL__N_127upsample_linear1d_out_frameIffEEviT0_bN5torch10headeronly6detail27GenericPackedTensorAccessorINS6_14TensorAccessorIN3c108ArrayRefIlEEKT_Lm2ENS5_16DefaultPtrTraitsElEENS_6detail16IndexBoundsCheckILm3ElEESD_Lm3ESE_lEENS7_INS8_ISB_SC_Lm2ESE_lEESI_SC_Lm3ESE_lEE,@function
_ZN2at6native12_GLOBAL__N_127upsample_linear1d_out_frameIffEEviT0_bN5torch10headeronly6detail27GenericPackedTensorAccessorINS6_14TensorAccessorIN3c108ArrayRefIlEEKT_Lm2ENS5_16DefaultPtrTraitsElEENS_6detail16IndexBoundsCheckILm3ElEESD_Lm3ESE_lEENS7_INS8_ISB_SC_Lm2ESE_lEESI_SC_Lm3ESE_lEE: ; @_ZN2at6native12_GLOBAL__N_127upsample_linear1d_out_frameIffEEviT0_bN5torch10headeronly6detail27GenericPackedTensorAccessorINS6_14TensorAccessorIN3c108ArrayRefIlEEKT_Lm2ENS5_16DefaultPtrTraitsElEENS_6detail16IndexBoundsCheckILm3ElEESD_Lm3ESE_lEENS7_INS8_ISB_SC_Lm2ESE_lEESI_SC_Lm3ESE_lEE
; %bb.0:
	s_load_dword s7, s[4:5], 0x8c
	s_load_dwordx4 s[0:3], s[4:5], 0x0
	s_waitcnt lgkmcnt(0)
	s_and_b32 s3, s7, 0xffff
	s_mul_i32 s6, s6, s3
	v_add_u32_e32 v0, s6, v0
	v_cmp_gt_i32_e32 vcc, s0, v0
	s_and_saveexec_b64 s[6:7], vcc
	s_cbranch_execz .LBB1_19
; %bb.1:
	s_load_dword s3, s[4:5], 0x60
	v_sub_u32_e32 v3, 0, v0
	v_max_i32_e32 v3, v0, v3
	v_ashrrev_i32_e32 v0, 31, v0
	s_load_dwordx4 s[16:19], s[4:5], 0x18
	s_waitcnt lgkmcnt(0)
	s_abs_i32 s6, s3
	v_cvt_f32_u32_e32 v1, s6
	s_sub_i32 s0, 0, s6
	v_rcp_iflag_f32_e32 v1, v1
	v_mul_f32_e32 v1, 0x4f7ffffe, v1
	v_cvt_u32_f32_e32 v1, v1
	v_mul_lo_u32 v2, s0, v1
	s_load_dword s0, s[4:5], 0x28
	v_mul_hi_u32 v2, v1, v2
	s_waitcnt lgkmcnt(0)
	s_cmp_lg_u32 s0, s3
	v_add_u32_e32 v1, v1, v2
	v_mul_hi_u32 v1, v3, v1
	v_mul_lo_u32 v1, v1, s6
	v_sub_u32_e32 v1, v3, v1
	v_subrev_u32_e32 v2, s6, v1
	v_cmp_le_u32_e32 vcc, s6, v1
	v_cndmask_b32_e32 v1, v1, v2, vcc
	v_subrev_u32_e32 v2, s6, v1
	v_cmp_le_u32_e32 vcc, s6, v1
	v_cndmask_b32_e32 v1, v1, v2, vcc
	v_xor_b32_e32 v1, v1, v0
	v_sub_u32_e32 v4, v1, v0
	s_mov_b64 s[6:7], -1
	s_cbranch_scc0 .LBB1_13
; %bb.2:
	v_cvt_f32_i32_e32 v1, v4
	s_bitcmp0_b32 s2, 0
	s_cbranch_scc0 .LBB1_4
; %bb.3:
	v_add_f32_e32 v0, 0.5, v1
	v_fma_f32 v0, s1, v0, -0.5
	v_cmp_ngt_f32_e32 vcc, 0, v0
	v_cndmask_b32_e32 v0, 0, v0, vcc
	s_cbranch_execz .LBB1_5
	s_branch .LBB1_6
.LBB1_4:
                                        ; implicit-def: $vgpr0
.LBB1_5:
	v_mul_f32_e32 v0, s1, v1
.LBB1_6:
	s_cmp_lt_i32 s16, 1
	s_cbranch_scc1 .LBB1_12
; %bb.7:
	v_cvt_i32_f32_e32 v2, v0
	s_load_dwordx2 s[6:7], s[4:5], 0x78
	s_load_dwordx4 s[20:23], s[4:5], 0x68
	s_load_dwordx8 s[8:15], s[4:5], 0x30
	v_cvt_f32_i32_e32 v1, v2
	s_add_i32 s19, s0, -1
	s_waitcnt lgkmcnt(0)
	v_mul_lo_u32 v7, s7, v4
	v_ashrrev_i32_e32 v3, 31, v2
	v_sub_f32_e32 v5, v0, v1
	v_ashrrev_i32_e32 v0, 31, v4
	v_mul_lo_u32 v8, s6, v0
	v_mad_u64_u32 v[0:1], s[6:7], s6, v4, 0
	v_cmp_gt_i32_e32 vcc, s19, v2
	v_addc_co_u32_e32 v9, vcc, 0, v2, vcc
	v_add3_u32 v1, v1, v8, v7
	v_mul_lo_u32 v8, s13, v2
	v_mul_lo_u32 v11, s12, v3
	v_mad_u64_u32 v[2:3], s[6:7], s12, v2, 0
	s_load_dwordx2 s[0:1], s[4:5], 0x10
	v_ashrrev_i32_e32 v10, 31, v9
	v_lshlrev_b64 v[0:1], 2, v[0:1]
	v_mul_lo_u32 v12, s12, v10
	v_mul_lo_u32 v13, s13, v9
	v_mad_u64_u32 v[9:10], s[12:13], s12, v9, 0
	v_add3_u32 v3, v3, v11, v8
	v_mov_b32_e32 v7, s15
	v_add_co_u32_e32 v0, vcc, s14, v0
	v_lshlrev_b64 v[2:3], 2, v[2:3]
	v_addc_co_u32_e32 v1, vcc, v7, v1, vcc
	s_waitcnt lgkmcnt(0)
	v_mov_b32_e32 v11, s1
	v_add_co_u32_e32 v7, vcc, s0, v2
	v_add3_u32 v10, v10, v12, v13
	v_addc_co_u32_e32 v8, vcc, v11, v3, vcc
	v_lshlrev_b64 v[2:3], 2, v[9:10]
	s_cmp_gt_i32 s18, 0
	v_add_co_u32_e32 v9, vcc, s0, v2
	s_mov_b32 s17, 0
	s_cselect_b64 s[2:3], -1, 0
	v_sub_f32_e32 v6, 1.0, v5
	s_lshl_b64 s[6:7], s[20:21], 2
	s_lshl_b64 s[14:15], s[22:23], 2
	;; [unrolled: 1-line block ×4, first 2 shown]
	v_addc_co_u32_e32 v10, vcc, v11, v3, vcc
	s_branch .LBB1_9
.LBB1_8:                                ;   in Loop: Header=BB1_9 Depth=1
	v_mov_b32_e32 v2, s7
	v_add_co_u32_e32 v0, vcc, s6, v0
	v_addc_co_u32_e32 v1, vcc, v1, v2, vcc
	v_mov_b32_e32 v2, s9
	v_add_co_u32_e32 v7, vcc, s8, v7
	v_addc_co_u32_e32 v8, vcc, v8, v2, vcc
	s_add_i32 s17, s17, 1
	v_add_co_u32_e32 v9, vcc, s8, v9
	s_cmp_eq_u32 s17, s16
	v_addc_co_u32_e32 v10, vcc, v10, v2, vcc
	s_cbranch_scc1 .LBB1_12
.LBB1_9:                                ; =>This Loop Header: Depth=1
                                        ;     Child Loop BB1_11 Depth 2
	s_andn2_b64 vcc, exec, s[2:3]
	s_cbranch_vccnz .LBB1_8
; %bb.10:                               ;   in Loop: Header=BB1_9 Depth=1
	v_mov_b32_e32 v3, v1
	s_mov_b64 s[12:13], 0
	v_mov_b32_e32 v2, v0
	s_mov_b32 s19, s18
.LBB1_11:                               ;   Parent Loop BB1_9 Depth=1
                                        ; =>  This Inner Loop Header: Depth=2
	v_mov_b32_e32 v12, s13
	v_add_co_u32_e32 v11, vcc, s12, v9
	v_add_co_u32_e64 v13, s[0:1], s12, v7
	v_addc_co_u32_e64 v14, s[0:1], v8, v12, s[0:1]
	v_addc_co_u32_e32 v12, vcc, v10, v12, vcc
	global_load_dword v15, v[11:12], off
	global_load_dword v16, v[13:14], off
	s_add_i32 s19, s19, -1
	s_add_u32 s12, s12, s10
	v_mov_b32_e32 v11, s15
	s_addc_u32 s13, s13, s11
	s_cmp_eq_u32 s19, 0
	s_waitcnt vmcnt(1)
	v_mul_f32_e32 v12, v5, v15
	s_waitcnt vmcnt(0)
	v_fmac_f32_e32 v12, v6, v16
	global_store_dword v[2:3], v12, off
	v_add_co_u32_e32 v2, vcc, s14, v2
	v_addc_co_u32_e32 v3, vcc, v3, v11, vcc
	s_cbranch_scc0 .LBB1_11
	s_branch .LBB1_8
.LBB1_12:
	s_mov_b64 s[6:7], 0
.LBB1_13:
	s_and_b64 vcc, exec, s[6:7]
	s_cbranch_vccz .LBB1_19
; %bb.14:
	s_cmp_lt_i32 s16, 1
	s_cbranch_scc1 .LBB1_19
; %bb.15:
	s_load_dwordx8 s[8:15], s[4:5], 0x30
	v_ashrrev_i32_e32 v2, 31, v4
	s_load_dwordx2 s[2:3], s[4:5], 0x78
	s_cmp_gt_i32 s18, 0
	s_mov_b32 s17, 0
	s_waitcnt lgkmcnt(0)
	v_mul_lo_u32 v3, s13, v4
	v_mul_lo_u32 v5, s12, v2
	v_mad_u64_u32 v[0:1], s[0:1], s12, v4, 0
	s_load_dwordx2 s[0:1], s[4:5], 0x10
	s_load_dwordx4 s[20:23], s[4:5], 0x68
	v_add3_u32 v1, v1, v5, v3
	v_mul_lo_u32 v6, s3, v4
	v_mul_lo_u32 v7, s2, v2
	v_mad_u64_u32 v[2:3], s[2:3], s2, v4, 0
	v_lshlrev_b64 v[0:1], 2, v[0:1]
	s_waitcnt lgkmcnt(0)
	v_mov_b32_e32 v5, s1
	v_add3_u32 v3, v3, v7, v6
	v_add_co_u32_e32 v0, vcc, s0, v0
	v_lshlrev_b64 v[2:3], 2, v[2:3]
	v_addc_co_u32_e32 v1, vcc, v5, v1, vcc
	s_cselect_b64 s[12:13], -1, 0
	v_mov_b32_e32 v4, s15
	v_add_co_u32_e32 v2, vcc, s14, v2
	v_addc_co_u32_e32 v3, vcc, v4, v3, vcc
	v_cndmask_b32_e64 v4, 0, 1, s[12:13]
	s_lshl_b64 s[2:3], s[20:21], 2
	s_lshl_b64 s[4:5], s[22:23], 2
	;; [unrolled: 1-line block ×4, first 2 shown]
	v_cmp_ne_u32_e64 s[0:1], 1, v4
	s_branch .LBB1_17
.LBB1_16:                               ;   in Loop: Header=BB1_17 Depth=1
	v_mov_b32_e32 v4, s3
	v_add_co_u32_e32 v2, vcc, s2, v2
	v_addc_co_u32_e32 v3, vcc, v3, v4, vcc
	s_add_i32 s17, s17, 1
	v_mov_b32_e32 v4, s7
	v_add_co_u32_e32 v0, vcc, s6, v0
	s_cmp_eq_u32 s17, s16
	v_addc_co_u32_e32 v1, vcc, v1, v4, vcc
	s_cbranch_scc1 .LBB1_19
.LBB1_17:                               ; =>This Loop Header: Depth=1
                                        ;     Child Loop BB1_18 Depth 2
	v_mov_b32_e32 v5, v1
	v_mov_b32_e32 v7, v3
	s_and_b64 vcc, exec, s[0:1]
	v_mov_b32_e32 v4, v0
	v_mov_b32_e32 v6, v2
	s_mov_b32 s10, s18
	s_cbranch_vccnz .LBB1_16
.LBB1_18:                               ;   Parent Loop BB1_17 Depth=1
                                        ; =>  This Inner Loop Header: Depth=2
	global_load_dword v8, v[4:5], off
	v_mov_b32_e32 v10, s9
	v_add_co_u32_e32 v4, vcc, s8, v4
	v_addc_co_u32_e32 v5, vcc, v5, v10, vcc
	s_add_i32 s10, s10, -1
	v_mov_b32_e32 v9, s5
	s_cmp_eq_u32 s10, 0
	s_waitcnt vmcnt(0)
	global_store_dword v[6:7], v8, off
	v_add_co_u32_e32 v6, vcc, s4, v6
	v_addc_co_u32_e32 v7, vcc, v7, v9, vcc
	s_cbranch_scc0 .LBB1_18
	s_branch .LBB1_16
.LBB1_19:
	s_endpgm
	.section	.rodata,"a",@progbits
	.p2align	6, 0x0
	.amdhsa_kernel _ZN2at6native12_GLOBAL__N_127upsample_linear1d_out_frameIffEEviT0_bN5torch10headeronly6detail27GenericPackedTensorAccessorINS6_14TensorAccessorIN3c108ArrayRefIlEEKT_Lm2ENS5_16DefaultPtrTraitsElEENS_6detail16IndexBoundsCheckILm3ElEESD_Lm3ESE_lEENS7_INS8_ISB_SC_Lm2ESE_lEESI_SC_Lm3ESE_lEE
		.amdhsa_group_segment_fixed_size 0
		.amdhsa_private_segment_fixed_size 0
		.amdhsa_kernarg_size 384
		.amdhsa_user_sgpr_count 6
		.amdhsa_user_sgpr_private_segment_buffer 1
		.amdhsa_user_sgpr_dispatch_ptr 0
		.amdhsa_user_sgpr_queue_ptr 0
		.amdhsa_user_sgpr_kernarg_segment_ptr 1
		.amdhsa_user_sgpr_dispatch_id 0
		.amdhsa_user_sgpr_flat_scratch_init 0
		.amdhsa_user_sgpr_private_segment_size 0
		.amdhsa_uses_dynamic_stack 0
		.amdhsa_system_sgpr_private_segment_wavefront_offset 0
		.amdhsa_system_sgpr_workgroup_id_x 1
		.amdhsa_system_sgpr_workgroup_id_y 0
		.amdhsa_system_sgpr_workgroup_id_z 0
		.amdhsa_system_sgpr_workgroup_info 0
		.amdhsa_system_vgpr_workitem_id 0
		.amdhsa_next_free_vgpr 17
		.amdhsa_next_free_sgpr 24
		.amdhsa_reserve_vcc 1
		.amdhsa_reserve_flat_scratch 0
		.amdhsa_float_round_mode_32 0
		.amdhsa_float_round_mode_16_64 0
		.amdhsa_float_denorm_mode_32 3
		.amdhsa_float_denorm_mode_16_64 3
		.amdhsa_dx10_clamp 1
		.amdhsa_ieee_mode 1
		.amdhsa_fp16_overflow 0
		.amdhsa_exception_fp_ieee_invalid_op 0
		.amdhsa_exception_fp_denorm_src 0
		.amdhsa_exception_fp_ieee_div_zero 0
		.amdhsa_exception_fp_ieee_overflow 0
		.amdhsa_exception_fp_ieee_underflow 0
		.amdhsa_exception_fp_ieee_inexact 0
		.amdhsa_exception_int_div_zero 0
	.end_amdhsa_kernel
	.section	.text._ZN2at6native12_GLOBAL__N_127upsample_linear1d_out_frameIffEEviT0_bN5torch10headeronly6detail27GenericPackedTensorAccessorINS6_14TensorAccessorIN3c108ArrayRefIlEEKT_Lm2ENS5_16DefaultPtrTraitsElEENS_6detail16IndexBoundsCheckILm3ElEESD_Lm3ESE_lEENS7_INS8_ISB_SC_Lm2ESE_lEESI_SC_Lm3ESE_lEE,"axG",@progbits,_ZN2at6native12_GLOBAL__N_127upsample_linear1d_out_frameIffEEviT0_bN5torch10headeronly6detail27GenericPackedTensorAccessorINS6_14TensorAccessorIN3c108ArrayRefIlEEKT_Lm2ENS5_16DefaultPtrTraitsElEENS_6detail16IndexBoundsCheckILm3ElEESD_Lm3ESE_lEENS7_INS8_ISB_SC_Lm2ESE_lEESI_SC_Lm3ESE_lEE,comdat
.Lfunc_end1:
	.size	_ZN2at6native12_GLOBAL__N_127upsample_linear1d_out_frameIffEEviT0_bN5torch10headeronly6detail27GenericPackedTensorAccessorINS6_14TensorAccessorIN3c108ArrayRefIlEEKT_Lm2ENS5_16DefaultPtrTraitsElEENS_6detail16IndexBoundsCheckILm3ElEESD_Lm3ESE_lEENS7_INS8_ISB_SC_Lm2ESE_lEESI_SC_Lm3ESE_lEE, .Lfunc_end1-_ZN2at6native12_GLOBAL__N_127upsample_linear1d_out_frameIffEEviT0_bN5torch10headeronly6detail27GenericPackedTensorAccessorINS6_14TensorAccessorIN3c108ArrayRefIlEEKT_Lm2ENS5_16DefaultPtrTraitsElEENS_6detail16IndexBoundsCheckILm3ElEESD_Lm3ESE_lEENS7_INS8_ISB_SC_Lm2ESE_lEESI_SC_Lm3ESE_lEE
                                        ; -- End function
	.set _ZN2at6native12_GLOBAL__N_127upsample_linear1d_out_frameIffEEviT0_bN5torch10headeronly6detail27GenericPackedTensorAccessorINS6_14TensorAccessorIN3c108ArrayRefIlEEKT_Lm2ENS5_16DefaultPtrTraitsElEENS_6detail16IndexBoundsCheckILm3ElEESD_Lm3ESE_lEENS7_INS8_ISB_SC_Lm2ESE_lEESI_SC_Lm3ESE_lEE.num_vgpr, 17
	.set _ZN2at6native12_GLOBAL__N_127upsample_linear1d_out_frameIffEEviT0_bN5torch10headeronly6detail27GenericPackedTensorAccessorINS6_14TensorAccessorIN3c108ArrayRefIlEEKT_Lm2ENS5_16DefaultPtrTraitsElEENS_6detail16IndexBoundsCheckILm3ElEESD_Lm3ESE_lEENS7_INS8_ISB_SC_Lm2ESE_lEESI_SC_Lm3ESE_lEE.num_agpr, 0
	.set _ZN2at6native12_GLOBAL__N_127upsample_linear1d_out_frameIffEEviT0_bN5torch10headeronly6detail27GenericPackedTensorAccessorINS6_14TensorAccessorIN3c108ArrayRefIlEEKT_Lm2ENS5_16DefaultPtrTraitsElEENS_6detail16IndexBoundsCheckILm3ElEESD_Lm3ESE_lEENS7_INS8_ISB_SC_Lm2ESE_lEESI_SC_Lm3ESE_lEE.numbered_sgpr, 24
	.set _ZN2at6native12_GLOBAL__N_127upsample_linear1d_out_frameIffEEviT0_bN5torch10headeronly6detail27GenericPackedTensorAccessorINS6_14TensorAccessorIN3c108ArrayRefIlEEKT_Lm2ENS5_16DefaultPtrTraitsElEENS_6detail16IndexBoundsCheckILm3ElEESD_Lm3ESE_lEENS7_INS8_ISB_SC_Lm2ESE_lEESI_SC_Lm3ESE_lEE.num_named_barrier, 0
	.set _ZN2at6native12_GLOBAL__N_127upsample_linear1d_out_frameIffEEviT0_bN5torch10headeronly6detail27GenericPackedTensorAccessorINS6_14TensorAccessorIN3c108ArrayRefIlEEKT_Lm2ENS5_16DefaultPtrTraitsElEENS_6detail16IndexBoundsCheckILm3ElEESD_Lm3ESE_lEENS7_INS8_ISB_SC_Lm2ESE_lEESI_SC_Lm3ESE_lEE.private_seg_size, 0
	.set _ZN2at6native12_GLOBAL__N_127upsample_linear1d_out_frameIffEEviT0_bN5torch10headeronly6detail27GenericPackedTensorAccessorINS6_14TensorAccessorIN3c108ArrayRefIlEEKT_Lm2ENS5_16DefaultPtrTraitsElEENS_6detail16IndexBoundsCheckILm3ElEESD_Lm3ESE_lEENS7_INS8_ISB_SC_Lm2ESE_lEESI_SC_Lm3ESE_lEE.uses_vcc, 1
	.set _ZN2at6native12_GLOBAL__N_127upsample_linear1d_out_frameIffEEviT0_bN5torch10headeronly6detail27GenericPackedTensorAccessorINS6_14TensorAccessorIN3c108ArrayRefIlEEKT_Lm2ENS5_16DefaultPtrTraitsElEENS_6detail16IndexBoundsCheckILm3ElEESD_Lm3ESE_lEENS7_INS8_ISB_SC_Lm2ESE_lEESI_SC_Lm3ESE_lEE.uses_flat_scratch, 0
	.set _ZN2at6native12_GLOBAL__N_127upsample_linear1d_out_frameIffEEviT0_bN5torch10headeronly6detail27GenericPackedTensorAccessorINS6_14TensorAccessorIN3c108ArrayRefIlEEKT_Lm2ENS5_16DefaultPtrTraitsElEENS_6detail16IndexBoundsCheckILm3ElEESD_Lm3ESE_lEENS7_INS8_ISB_SC_Lm2ESE_lEESI_SC_Lm3ESE_lEE.has_dyn_sized_stack, 0
	.set _ZN2at6native12_GLOBAL__N_127upsample_linear1d_out_frameIffEEviT0_bN5torch10headeronly6detail27GenericPackedTensorAccessorINS6_14TensorAccessorIN3c108ArrayRefIlEEKT_Lm2ENS5_16DefaultPtrTraitsElEENS_6detail16IndexBoundsCheckILm3ElEESD_Lm3ESE_lEENS7_INS8_ISB_SC_Lm2ESE_lEESI_SC_Lm3ESE_lEE.has_recursion, 0
	.set _ZN2at6native12_GLOBAL__N_127upsample_linear1d_out_frameIffEEviT0_bN5torch10headeronly6detail27GenericPackedTensorAccessorINS6_14TensorAccessorIN3c108ArrayRefIlEEKT_Lm2ENS5_16DefaultPtrTraitsElEENS_6detail16IndexBoundsCheckILm3ElEESD_Lm3ESE_lEENS7_INS8_ISB_SC_Lm2ESE_lEESI_SC_Lm3ESE_lEE.has_indirect_call, 0
	.section	.AMDGPU.csdata,"",@progbits
; Kernel info:
; codeLenInByte = 1036
; TotalNumSgprs: 28
; NumVgprs: 17
; ScratchSize: 0
; MemoryBound: 0
; FloatMode: 240
; IeeeMode: 1
; LDSByteSize: 0 bytes/workgroup (compile time only)
; SGPRBlocks: 3
; VGPRBlocks: 4
; NumSGPRsForWavesPerEU: 28
; NumVGPRsForWavesPerEU: 17
; Occupancy: 10
; WaveLimiterHint : 1
; COMPUTE_PGM_RSRC2:SCRATCH_EN: 0
; COMPUTE_PGM_RSRC2:USER_SGPR: 6
; COMPUTE_PGM_RSRC2:TRAP_HANDLER: 0
; COMPUTE_PGM_RSRC2:TGID_X_EN: 1
; COMPUTE_PGM_RSRC2:TGID_Y_EN: 0
; COMPUTE_PGM_RSRC2:TGID_Z_EN: 0
; COMPUTE_PGM_RSRC2:TIDIG_COMP_CNT: 0
	.section	.text._ZN2at6native12_GLOBAL__N_127upsample_linear1d_out_frameIN3c104HalfEfEEviT0_bN5torch10headeronly6detail27GenericPackedTensorAccessorINS8_14TensorAccessorINS3_8ArrayRefIlEEKT_Lm2ENS7_16DefaultPtrTraitsElEENS_6detail16IndexBoundsCheckILm3ElEESE_Lm3ESF_lEENS9_INSA_ISC_SD_Lm2ESF_lEESJ_SD_Lm3ESF_lEE,"axG",@progbits,_ZN2at6native12_GLOBAL__N_127upsample_linear1d_out_frameIN3c104HalfEfEEviT0_bN5torch10headeronly6detail27GenericPackedTensorAccessorINS8_14TensorAccessorINS3_8ArrayRefIlEEKT_Lm2ENS7_16DefaultPtrTraitsElEENS_6detail16IndexBoundsCheckILm3ElEESE_Lm3ESF_lEENS9_INSA_ISC_SD_Lm2ESF_lEESJ_SD_Lm3ESF_lEE,comdat
	.globl	_ZN2at6native12_GLOBAL__N_127upsample_linear1d_out_frameIN3c104HalfEfEEviT0_bN5torch10headeronly6detail27GenericPackedTensorAccessorINS8_14TensorAccessorINS3_8ArrayRefIlEEKT_Lm2ENS7_16DefaultPtrTraitsElEENS_6detail16IndexBoundsCheckILm3ElEESE_Lm3ESF_lEENS9_INSA_ISC_SD_Lm2ESF_lEESJ_SD_Lm3ESF_lEE ; -- Begin function _ZN2at6native12_GLOBAL__N_127upsample_linear1d_out_frameIN3c104HalfEfEEviT0_bN5torch10headeronly6detail27GenericPackedTensorAccessorINS8_14TensorAccessorINS3_8ArrayRefIlEEKT_Lm2ENS7_16DefaultPtrTraitsElEENS_6detail16IndexBoundsCheckILm3ElEESE_Lm3ESF_lEENS9_INSA_ISC_SD_Lm2ESF_lEESJ_SD_Lm3ESF_lEE
	.p2align	8
	.type	_ZN2at6native12_GLOBAL__N_127upsample_linear1d_out_frameIN3c104HalfEfEEviT0_bN5torch10headeronly6detail27GenericPackedTensorAccessorINS8_14TensorAccessorINS3_8ArrayRefIlEEKT_Lm2ENS7_16DefaultPtrTraitsElEENS_6detail16IndexBoundsCheckILm3ElEESE_Lm3ESF_lEENS9_INSA_ISC_SD_Lm2ESF_lEESJ_SD_Lm3ESF_lEE,@function
_ZN2at6native12_GLOBAL__N_127upsample_linear1d_out_frameIN3c104HalfEfEEviT0_bN5torch10headeronly6detail27GenericPackedTensorAccessorINS8_14TensorAccessorINS3_8ArrayRefIlEEKT_Lm2ENS7_16DefaultPtrTraitsElEENS_6detail16IndexBoundsCheckILm3ElEESE_Lm3ESF_lEENS9_INSA_ISC_SD_Lm2ESF_lEESJ_SD_Lm3ESF_lEE: ; @_ZN2at6native12_GLOBAL__N_127upsample_linear1d_out_frameIN3c104HalfEfEEviT0_bN5torch10headeronly6detail27GenericPackedTensorAccessorINS8_14TensorAccessorINS3_8ArrayRefIlEEKT_Lm2ENS7_16DefaultPtrTraitsElEENS_6detail16IndexBoundsCheckILm3ElEESE_Lm3ESF_lEENS9_INSA_ISC_SD_Lm2ESF_lEESJ_SD_Lm3ESF_lEE
; %bb.0:
	s_load_dword s7, s[4:5], 0x8c
	s_load_dwordx4 s[0:3], s[4:5], 0x0
	s_waitcnt lgkmcnt(0)
	s_and_b32 s3, s7, 0xffff
	s_mul_i32 s6, s6, s3
	v_add_u32_e32 v0, s6, v0
	v_cmp_gt_i32_e32 vcc, s0, v0
	s_and_saveexec_b64 s[6:7], vcc
	s_cbranch_execz .LBB2_19
; %bb.1:
	s_load_dword s3, s[4:5], 0x60
	v_sub_u32_e32 v3, 0, v0
	v_max_i32_e32 v3, v0, v3
	v_ashrrev_i32_e32 v0, 31, v0
	s_load_dwordx4 s[16:19], s[4:5], 0x18
	s_waitcnt lgkmcnt(0)
	s_abs_i32 s6, s3
	v_cvt_f32_u32_e32 v1, s6
	s_sub_i32 s0, 0, s6
	v_rcp_iflag_f32_e32 v1, v1
	v_mul_f32_e32 v1, 0x4f7ffffe, v1
	v_cvt_u32_f32_e32 v1, v1
	v_mul_lo_u32 v2, s0, v1
	s_load_dword s0, s[4:5], 0x28
	v_mul_hi_u32 v2, v1, v2
	s_waitcnt lgkmcnt(0)
	s_cmp_lg_u32 s0, s3
	v_add_u32_e32 v1, v1, v2
	v_mul_hi_u32 v1, v3, v1
	v_mul_lo_u32 v1, v1, s6
	v_sub_u32_e32 v1, v3, v1
	v_subrev_u32_e32 v2, s6, v1
	v_cmp_le_u32_e32 vcc, s6, v1
	v_cndmask_b32_e32 v1, v1, v2, vcc
	v_subrev_u32_e32 v2, s6, v1
	v_cmp_le_u32_e32 vcc, s6, v1
	v_cndmask_b32_e32 v1, v1, v2, vcc
	v_xor_b32_e32 v1, v1, v0
	v_sub_u32_e32 v4, v1, v0
	s_mov_b64 s[6:7], -1
	s_cbranch_scc0 .LBB2_13
; %bb.2:
	v_cvt_f32_i32_e32 v1, v4
	s_bitcmp0_b32 s2, 0
	s_cbranch_scc0 .LBB2_4
; %bb.3:
	v_add_f32_e32 v0, 0.5, v1
	v_fma_f32 v0, s1, v0, -0.5
	v_cmp_ngt_f32_e32 vcc, 0, v0
	v_cndmask_b32_e32 v0, 0, v0, vcc
	s_cbranch_execz .LBB2_5
	s_branch .LBB2_6
.LBB2_4:
                                        ; implicit-def: $vgpr0
.LBB2_5:
	v_mul_f32_e32 v0, s1, v1
.LBB2_6:
	s_cmp_lt_i32 s16, 1
	s_cbranch_scc1 .LBB2_12
; %bb.7:
	v_cvt_i32_f32_e32 v2, v0
	s_load_dwordx2 s[6:7], s[4:5], 0x78
	s_load_dwordx4 s[20:23], s[4:5], 0x68
	s_load_dwordx8 s[8:15], s[4:5], 0x30
	v_cvt_f32_i32_e32 v1, v2
	s_add_i32 s19, s0, -1
	s_waitcnt lgkmcnt(0)
	v_mul_lo_u32 v7, s7, v4
	v_ashrrev_i32_e32 v3, 31, v2
	v_sub_f32_e32 v5, v0, v1
	v_ashrrev_i32_e32 v0, 31, v4
	v_mul_lo_u32 v8, s6, v0
	v_mad_u64_u32 v[0:1], s[6:7], s6, v4, 0
	v_cmp_gt_i32_e32 vcc, s19, v2
	v_addc_co_u32_e32 v9, vcc, 0, v2, vcc
	v_add3_u32 v1, v1, v8, v7
	v_mul_lo_u32 v8, s13, v2
	v_mul_lo_u32 v11, s12, v3
	v_mad_u64_u32 v[2:3], s[6:7], s12, v2, 0
	s_load_dwordx2 s[0:1], s[4:5], 0x10
	v_ashrrev_i32_e32 v10, 31, v9
	v_lshlrev_b64 v[0:1], 1, v[0:1]
	v_mul_lo_u32 v12, s12, v10
	v_mul_lo_u32 v13, s13, v9
	v_mad_u64_u32 v[9:10], s[12:13], s12, v9, 0
	v_add3_u32 v3, v3, v11, v8
	v_mov_b32_e32 v7, s15
	v_add_co_u32_e32 v0, vcc, s14, v0
	v_lshlrev_b64 v[2:3], 1, v[2:3]
	v_addc_co_u32_e32 v1, vcc, v7, v1, vcc
	s_waitcnt lgkmcnt(0)
	v_mov_b32_e32 v11, s1
	v_add_co_u32_e32 v7, vcc, s0, v2
	v_add3_u32 v10, v10, v12, v13
	v_addc_co_u32_e32 v8, vcc, v11, v3, vcc
	v_lshlrev_b64 v[2:3], 1, v[9:10]
	s_cmp_gt_i32 s18, 0
	v_add_co_u32_e32 v9, vcc, s0, v2
	s_mov_b32 s17, 0
	s_cselect_b64 s[2:3], -1, 0
	v_sub_f32_e32 v6, 1.0, v5
	s_lshl_b64 s[6:7], s[20:21], 1
	s_lshl_b64 s[14:15], s[22:23], 1
	;; [unrolled: 1-line block ×4, first 2 shown]
	v_addc_co_u32_e32 v10, vcc, v11, v3, vcc
	s_branch .LBB2_9
.LBB2_8:                                ;   in Loop: Header=BB2_9 Depth=1
	v_mov_b32_e32 v2, s7
	v_add_co_u32_e32 v0, vcc, s6, v0
	v_addc_co_u32_e32 v1, vcc, v1, v2, vcc
	v_mov_b32_e32 v2, s9
	v_add_co_u32_e32 v7, vcc, s8, v7
	v_addc_co_u32_e32 v8, vcc, v8, v2, vcc
	s_add_i32 s17, s17, 1
	v_add_co_u32_e32 v9, vcc, s8, v9
	s_cmp_eq_u32 s17, s16
	v_addc_co_u32_e32 v10, vcc, v10, v2, vcc
	s_cbranch_scc1 .LBB2_12
.LBB2_9:                                ; =>This Loop Header: Depth=1
                                        ;     Child Loop BB2_11 Depth 2
	s_andn2_b64 vcc, exec, s[2:3]
	s_cbranch_vccnz .LBB2_8
; %bb.10:                               ;   in Loop: Header=BB2_9 Depth=1
	v_mov_b32_e32 v3, v1
	s_mov_b64 s[12:13], 0
	v_mov_b32_e32 v2, v0
	s_mov_b32 s19, s18
.LBB2_11:                               ;   Parent Loop BB2_9 Depth=1
                                        ; =>  This Inner Loop Header: Depth=2
	v_mov_b32_e32 v12, s13
	v_add_co_u32_e32 v11, vcc, s12, v9
	v_add_co_u32_e64 v13, s[0:1], s12, v7
	v_addc_co_u32_e64 v14, s[0:1], v8, v12, s[0:1]
	v_addc_co_u32_e32 v12, vcc, v10, v12, vcc
	global_load_ushort v15, v[11:12], off
	global_load_ushort v16, v[13:14], off
	s_add_i32 s19, s19, -1
	s_add_u32 s12, s12, s10
	v_mov_b32_e32 v11, s15
	s_addc_u32 s13, s13, s11
	s_cmp_eq_u32 s19, 0
	s_waitcnt vmcnt(1)
	v_cvt_f32_f16_e32 v12, v15
	v_mul_f32_e32 v12, v5, v12
	s_waitcnt vmcnt(0)
	v_fma_mixlo_f16 v12, v6, v16, v12 op_sel_hi:[0,1,0]
	global_store_short v[2:3], v12, off
	v_add_co_u32_e32 v2, vcc, s14, v2
	v_addc_co_u32_e32 v3, vcc, v3, v11, vcc
	s_cbranch_scc0 .LBB2_11
	s_branch .LBB2_8
.LBB2_12:
	s_mov_b64 s[6:7], 0
.LBB2_13:
	s_and_b64 vcc, exec, s[6:7]
	s_cbranch_vccz .LBB2_19
; %bb.14:
	s_cmp_lt_i32 s16, 1
	s_cbranch_scc1 .LBB2_19
; %bb.15:
	s_load_dwordx8 s[8:15], s[4:5], 0x30
	v_ashrrev_i32_e32 v2, 31, v4
	s_load_dwordx2 s[2:3], s[4:5], 0x78
	s_cmp_gt_i32 s18, 0
	s_mov_b32 s17, 0
	s_waitcnt lgkmcnt(0)
	v_mul_lo_u32 v3, s13, v4
	v_mul_lo_u32 v5, s12, v2
	v_mad_u64_u32 v[0:1], s[0:1], s12, v4, 0
	s_load_dwordx2 s[0:1], s[4:5], 0x10
	s_load_dwordx4 s[20:23], s[4:5], 0x68
	v_add3_u32 v1, v1, v5, v3
	v_mul_lo_u32 v6, s3, v4
	v_mul_lo_u32 v7, s2, v2
	v_mad_u64_u32 v[2:3], s[2:3], s2, v4, 0
	v_lshlrev_b64 v[0:1], 1, v[0:1]
	s_waitcnt lgkmcnt(0)
	v_mov_b32_e32 v5, s1
	v_add3_u32 v3, v3, v7, v6
	v_add_co_u32_e32 v0, vcc, s0, v0
	v_lshlrev_b64 v[2:3], 1, v[2:3]
	v_addc_co_u32_e32 v1, vcc, v5, v1, vcc
	s_cselect_b64 s[12:13], -1, 0
	v_mov_b32_e32 v4, s15
	v_add_co_u32_e32 v2, vcc, s14, v2
	v_addc_co_u32_e32 v3, vcc, v4, v3, vcc
	v_cndmask_b32_e64 v4, 0, 1, s[12:13]
	s_lshl_b64 s[2:3], s[20:21], 1
	s_lshl_b64 s[4:5], s[22:23], 1
	;; [unrolled: 1-line block ×4, first 2 shown]
	v_cmp_ne_u32_e64 s[0:1], 1, v4
	s_branch .LBB2_17
.LBB2_16:                               ;   in Loop: Header=BB2_17 Depth=1
	v_mov_b32_e32 v4, s3
	v_add_co_u32_e32 v2, vcc, s2, v2
	v_addc_co_u32_e32 v3, vcc, v3, v4, vcc
	s_add_i32 s17, s17, 1
	v_mov_b32_e32 v4, s7
	v_add_co_u32_e32 v0, vcc, s6, v0
	s_cmp_eq_u32 s17, s16
	v_addc_co_u32_e32 v1, vcc, v1, v4, vcc
	s_cbranch_scc1 .LBB2_19
.LBB2_17:                               ; =>This Loop Header: Depth=1
                                        ;     Child Loop BB2_18 Depth 2
	v_mov_b32_e32 v5, v1
	v_mov_b32_e32 v7, v3
	s_and_b64 vcc, exec, s[0:1]
	v_mov_b32_e32 v4, v0
	v_mov_b32_e32 v6, v2
	s_mov_b32 s10, s18
	s_cbranch_vccnz .LBB2_16
.LBB2_18:                               ;   Parent Loop BB2_17 Depth=1
                                        ; =>  This Inner Loop Header: Depth=2
	global_load_ushort v8, v[4:5], off
	v_mov_b32_e32 v10, s9
	v_add_co_u32_e32 v4, vcc, s8, v4
	v_addc_co_u32_e32 v5, vcc, v5, v10, vcc
	s_add_i32 s10, s10, -1
	v_mov_b32_e32 v9, s5
	s_cmp_eq_u32 s10, 0
	s_waitcnt vmcnt(0)
	global_store_short v[6:7], v8, off
	v_add_co_u32_e32 v6, vcc, s4, v6
	v_addc_co_u32_e32 v7, vcc, v7, v9, vcc
	s_cbranch_scc0 .LBB2_18
	s_branch .LBB2_16
.LBB2_19:
	s_endpgm
	.section	.rodata,"a",@progbits
	.p2align	6, 0x0
	.amdhsa_kernel _ZN2at6native12_GLOBAL__N_127upsample_linear1d_out_frameIN3c104HalfEfEEviT0_bN5torch10headeronly6detail27GenericPackedTensorAccessorINS8_14TensorAccessorINS3_8ArrayRefIlEEKT_Lm2ENS7_16DefaultPtrTraitsElEENS_6detail16IndexBoundsCheckILm3ElEESE_Lm3ESF_lEENS9_INSA_ISC_SD_Lm2ESF_lEESJ_SD_Lm3ESF_lEE
		.amdhsa_group_segment_fixed_size 0
		.amdhsa_private_segment_fixed_size 0
		.amdhsa_kernarg_size 384
		.amdhsa_user_sgpr_count 6
		.amdhsa_user_sgpr_private_segment_buffer 1
		.amdhsa_user_sgpr_dispatch_ptr 0
		.amdhsa_user_sgpr_queue_ptr 0
		.amdhsa_user_sgpr_kernarg_segment_ptr 1
		.amdhsa_user_sgpr_dispatch_id 0
		.amdhsa_user_sgpr_flat_scratch_init 0
		.amdhsa_user_sgpr_private_segment_size 0
		.amdhsa_uses_dynamic_stack 0
		.amdhsa_system_sgpr_private_segment_wavefront_offset 0
		.amdhsa_system_sgpr_workgroup_id_x 1
		.amdhsa_system_sgpr_workgroup_id_y 0
		.amdhsa_system_sgpr_workgroup_id_z 0
		.amdhsa_system_sgpr_workgroup_info 0
		.amdhsa_system_vgpr_workitem_id 0
		.amdhsa_next_free_vgpr 17
		.amdhsa_next_free_sgpr 24
		.amdhsa_reserve_vcc 1
		.amdhsa_reserve_flat_scratch 0
		.amdhsa_float_round_mode_32 0
		.amdhsa_float_round_mode_16_64 0
		.amdhsa_float_denorm_mode_32 3
		.amdhsa_float_denorm_mode_16_64 3
		.amdhsa_dx10_clamp 1
		.amdhsa_ieee_mode 1
		.amdhsa_fp16_overflow 0
		.amdhsa_exception_fp_ieee_invalid_op 0
		.amdhsa_exception_fp_denorm_src 0
		.amdhsa_exception_fp_ieee_div_zero 0
		.amdhsa_exception_fp_ieee_overflow 0
		.amdhsa_exception_fp_ieee_underflow 0
		.amdhsa_exception_fp_ieee_inexact 0
		.amdhsa_exception_int_div_zero 0
	.end_amdhsa_kernel
	.section	.text._ZN2at6native12_GLOBAL__N_127upsample_linear1d_out_frameIN3c104HalfEfEEviT0_bN5torch10headeronly6detail27GenericPackedTensorAccessorINS8_14TensorAccessorINS3_8ArrayRefIlEEKT_Lm2ENS7_16DefaultPtrTraitsElEENS_6detail16IndexBoundsCheckILm3ElEESE_Lm3ESF_lEENS9_INSA_ISC_SD_Lm2ESF_lEESJ_SD_Lm3ESF_lEE,"axG",@progbits,_ZN2at6native12_GLOBAL__N_127upsample_linear1d_out_frameIN3c104HalfEfEEviT0_bN5torch10headeronly6detail27GenericPackedTensorAccessorINS8_14TensorAccessorINS3_8ArrayRefIlEEKT_Lm2ENS7_16DefaultPtrTraitsElEENS_6detail16IndexBoundsCheckILm3ElEESE_Lm3ESF_lEENS9_INSA_ISC_SD_Lm2ESF_lEESJ_SD_Lm3ESF_lEE,comdat
.Lfunc_end2:
	.size	_ZN2at6native12_GLOBAL__N_127upsample_linear1d_out_frameIN3c104HalfEfEEviT0_bN5torch10headeronly6detail27GenericPackedTensorAccessorINS8_14TensorAccessorINS3_8ArrayRefIlEEKT_Lm2ENS7_16DefaultPtrTraitsElEENS_6detail16IndexBoundsCheckILm3ElEESE_Lm3ESF_lEENS9_INSA_ISC_SD_Lm2ESF_lEESJ_SD_Lm3ESF_lEE, .Lfunc_end2-_ZN2at6native12_GLOBAL__N_127upsample_linear1d_out_frameIN3c104HalfEfEEviT0_bN5torch10headeronly6detail27GenericPackedTensorAccessorINS8_14TensorAccessorINS3_8ArrayRefIlEEKT_Lm2ENS7_16DefaultPtrTraitsElEENS_6detail16IndexBoundsCheckILm3ElEESE_Lm3ESF_lEENS9_INSA_ISC_SD_Lm2ESF_lEESJ_SD_Lm3ESF_lEE
                                        ; -- End function
	.set _ZN2at6native12_GLOBAL__N_127upsample_linear1d_out_frameIN3c104HalfEfEEviT0_bN5torch10headeronly6detail27GenericPackedTensorAccessorINS8_14TensorAccessorINS3_8ArrayRefIlEEKT_Lm2ENS7_16DefaultPtrTraitsElEENS_6detail16IndexBoundsCheckILm3ElEESE_Lm3ESF_lEENS9_INSA_ISC_SD_Lm2ESF_lEESJ_SD_Lm3ESF_lEE.num_vgpr, 17
	.set _ZN2at6native12_GLOBAL__N_127upsample_linear1d_out_frameIN3c104HalfEfEEviT0_bN5torch10headeronly6detail27GenericPackedTensorAccessorINS8_14TensorAccessorINS3_8ArrayRefIlEEKT_Lm2ENS7_16DefaultPtrTraitsElEENS_6detail16IndexBoundsCheckILm3ElEESE_Lm3ESF_lEENS9_INSA_ISC_SD_Lm2ESF_lEESJ_SD_Lm3ESF_lEE.num_agpr, 0
	.set _ZN2at6native12_GLOBAL__N_127upsample_linear1d_out_frameIN3c104HalfEfEEviT0_bN5torch10headeronly6detail27GenericPackedTensorAccessorINS8_14TensorAccessorINS3_8ArrayRefIlEEKT_Lm2ENS7_16DefaultPtrTraitsElEENS_6detail16IndexBoundsCheckILm3ElEESE_Lm3ESF_lEENS9_INSA_ISC_SD_Lm2ESF_lEESJ_SD_Lm3ESF_lEE.numbered_sgpr, 24
	.set _ZN2at6native12_GLOBAL__N_127upsample_linear1d_out_frameIN3c104HalfEfEEviT0_bN5torch10headeronly6detail27GenericPackedTensorAccessorINS8_14TensorAccessorINS3_8ArrayRefIlEEKT_Lm2ENS7_16DefaultPtrTraitsElEENS_6detail16IndexBoundsCheckILm3ElEESE_Lm3ESF_lEENS9_INSA_ISC_SD_Lm2ESF_lEESJ_SD_Lm3ESF_lEE.num_named_barrier, 0
	.set _ZN2at6native12_GLOBAL__N_127upsample_linear1d_out_frameIN3c104HalfEfEEviT0_bN5torch10headeronly6detail27GenericPackedTensorAccessorINS8_14TensorAccessorINS3_8ArrayRefIlEEKT_Lm2ENS7_16DefaultPtrTraitsElEENS_6detail16IndexBoundsCheckILm3ElEESE_Lm3ESF_lEENS9_INSA_ISC_SD_Lm2ESF_lEESJ_SD_Lm3ESF_lEE.private_seg_size, 0
	.set _ZN2at6native12_GLOBAL__N_127upsample_linear1d_out_frameIN3c104HalfEfEEviT0_bN5torch10headeronly6detail27GenericPackedTensorAccessorINS8_14TensorAccessorINS3_8ArrayRefIlEEKT_Lm2ENS7_16DefaultPtrTraitsElEENS_6detail16IndexBoundsCheckILm3ElEESE_Lm3ESF_lEENS9_INSA_ISC_SD_Lm2ESF_lEESJ_SD_Lm3ESF_lEE.uses_vcc, 1
	.set _ZN2at6native12_GLOBAL__N_127upsample_linear1d_out_frameIN3c104HalfEfEEviT0_bN5torch10headeronly6detail27GenericPackedTensorAccessorINS8_14TensorAccessorINS3_8ArrayRefIlEEKT_Lm2ENS7_16DefaultPtrTraitsElEENS_6detail16IndexBoundsCheckILm3ElEESE_Lm3ESF_lEENS9_INSA_ISC_SD_Lm2ESF_lEESJ_SD_Lm3ESF_lEE.uses_flat_scratch, 0
	.set _ZN2at6native12_GLOBAL__N_127upsample_linear1d_out_frameIN3c104HalfEfEEviT0_bN5torch10headeronly6detail27GenericPackedTensorAccessorINS8_14TensorAccessorINS3_8ArrayRefIlEEKT_Lm2ENS7_16DefaultPtrTraitsElEENS_6detail16IndexBoundsCheckILm3ElEESE_Lm3ESF_lEENS9_INSA_ISC_SD_Lm2ESF_lEESJ_SD_Lm3ESF_lEE.has_dyn_sized_stack, 0
	.set _ZN2at6native12_GLOBAL__N_127upsample_linear1d_out_frameIN3c104HalfEfEEviT0_bN5torch10headeronly6detail27GenericPackedTensorAccessorINS8_14TensorAccessorINS3_8ArrayRefIlEEKT_Lm2ENS7_16DefaultPtrTraitsElEENS_6detail16IndexBoundsCheckILm3ElEESE_Lm3ESF_lEENS9_INSA_ISC_SD_Lm2ESF_lEESJ_SD_Lm3ESF_lEE.has_recursion, 0
	.set _ZN2at6native12_GLOBAL__N_127upsample_linear1d_out_frameIN3c104HalfEfEEviT0_bN5torch10headeronly6detail27GenericPackedTensorAccessorINS8_14TensorAccessorINS3_8ArrayRefIlEEKT_Lm2ENS7_16DefaultPtrTraitsElEENS_6detail16IndexBoundsCheckILm3ElEESE_Lm3ESF_lEENS9_INSA_ISC_SD_Lm2ESF_lEESJ_SD_Lm3ESF_lEE.has_indirect_call, 0
	.section	.AMDGPU.csdata,"",@progbits
; Kernel info:
; codeLenInByte = 1044
; TotalNumSgprs: 28
; NumVgprs: 17
; ScratchSize: 0
; MemoryBound: 0
; FloatMode: 240
; IeeeMode: 1
; LDSByteSize: 0 bytes/workgroup (compile time only)
; SGPRBlocks: 3
; VGPRBlocks: 4
; NumSGPRsForWavesPerEU: 28
; NumVGPRsForWavesPerEU: 17
; Occupancy: 10
; WaveLimiterHint : 1
; COMPUTE_PGM_RSRC2:SCRATCH_EN: 0
; COMPUTE_PGM_RSRC2:USER_SGPR: 6
; COMPUTE_PGM_RSRC2:TRAP_HANDLER: 0
; COMPUTE_PGM_RSRC2:TGID_X_EN: 1
; COMPUTE_PGM_RSRC2:TGID_Y_EN: 0
; COMPUTE_PGM_RSRC2:TGID_Z_EN: 0
; COMPUTE_PGM_RSRC2:TIDIG_COMP_CNT: 0
	.section	.text._ZN2at6native12_GLOBAL__N_127upsample_linear1d_out_frameIN3c108BFloat16EfEEviT0_bN5torch10headeronly6detail27GenericPackedTensorAccessorINS8_14TensorAccessorINS3_8ArrayRefIlEEKT_Lm2ENS7_16DefaultPtrTraitsElEENS_6detail16IndexBoundsCheckILm3ElEESE_Lm3ESF_lEENS9_INSA_ISC_SD_Lm2ESF_lEESJ_SD_Lm3ESF_lEE,"axG",@progbits,_ZN2at6native12_GLOBAL__N_127upsample_linear1d_out_frameIN3c108BFloat16EfEEviT0_bN5torch10headeronly6detail27GenericPackedTensorAccessorINS8_14TensorAccessorINS3_8ArrayRefIlEEKT_Lm2ENS7_16DefaultPtrTraitsElEENS_6detail16IndexBoundsCheckILm3ElEESE_Lm3ESF_lEENS9_INSA_ISC_SD_Lm2ESF_lEESJ_SD_Lm3ESF_lEE,comdat
	.globl	_ZN2at6native12_GLOBAL__N_127upsample_linear1d_out_frameIN3c108BFloat16EfEEviT0_bN5torch10headeronly6detail27GenericPackedTensorAccessorINS8_14TensorAccessorINS3_8ArrayRefIlEEKT_Lm2ENS7_16DefaultPtrTraitsElEENS_6detail16IndexBoundsCheckILm3ElEESE_Lm3ESF_lEENS9_INSA_ISC_SD_Lm2ESF_lEESJ_SD_Lm3ESF_lEE ; -- Begin function _ZN2at6native12_GLOBAL__N_127upsample_linear1d_out_frameIN3c108BFloat16EfEEviT0_bN5torch10headeronly6detail27GenericPackedTensorAccessorINS8_14TensorAccessorINS3_8ArrayRefIlEEKT_Lm2ENS7_16DefaultPtrTraitsElEENS_6detail16IndexBoundsCheckILm3ElEESE_Lm3ESF_lEENS9_INSA_ISC_SD_Lm2ESF_lEESJ_SD_Lm3ESF_lEE
	.p2align	8
	.type	_ZN2at6native12_GLOBAL__N_127upsample_linear1d_out_frameIN3c108BFloat16EfEEviT0_bN5torch10headeronly6detail27GenericPackedTensorAccessorINS8_14TensorAccessorINS3_8ArrayRefIlEEKT_Lm2ENS7_16DefaultPtrTraitsElEENS_6detail16IndexBoundsCheckILm3ElEESE_Lm3ESF_lEENS9_INSA_ISC_SD_Lm2ESF_lEESJ_SD_Lm3ESF_lEE,@function
_ZN2at6native12_GLOBAL__N_127upsample_linear1d_out_frameIN3c108BFloat16EfEEviT0_bN5torch10headeronly6detail27GenericPackedTensorAccessorINS8_14TensorAccessorINS3_8ArrayRefIlEEKT_Lm2ENS7_16DefaultPtrTraitsElEENS_6detail16IndexBoundsCheckILm3ElEESE_Lm3ESF_lEENS9_INSA_ISC_SD_Lm2ESF_lEESJ_SD_Lm3ESF_lEE: ; @_ZN2at6native12_GLOBAL__N_127upsample_linear1d_out_frameIN3c108BFloat16EfEEviT0_bN5torch10headeronly6detail27GenericPackedTensorAccessorINS8_14TensorAccessorINS3_8ArrayRefIlEEKT_Lm2ENS7_16DefaultPtrTraitsElEENS_6detail16IndexBoundsCheckILm3ElEESE_Lm3ESF_lEENS9_INSA_ISC_SD_Lm2ESF_lEESJ_SD_Lm3ESF_lEE
; %bb.0:
	s_load_dword s7, s[4:5], 0x8c
	s_load_dwordx4 s[0:3], s[4:5], 0x0
	s_waitcnt lgkmcnt(0)
	s_and_b32 s3, s7, 0xffff
	s_mul_i32 s6, s6, s3
	v_add_u32_e32 v0, s6, v0
	v_cmp_gt_i32_e32 vcc, s0, v0
	s_and_saveexec_b64 s[6:7], vcc
	s_cbranch_execz .LBB3_19
; %bb.1:
	s_load_dword s3, s[4:5], 0x60
	v_sub_u32_e32 v3, 0, v0
	v_max_i32_e32 v3, v0, v3
	v_ashrrev_i32_e32 v0, 31, v0
	s_load_dwordx4 s[16:19], s[4:5], 0x18
	s_waitcnt lgkmcnt(0)
	s_abs_i32 s6, s3
	v_cvt_f32_u32_e32 v1, s6
	s_sub_i32 s0, 0, s6
	v_rcp_iflag_f32_e32 v1, v1
	v_mul_f32_e32 v1, 0x4f7ffffe, v1
	v_cvt_u32_f32_e32 v1, v1
	v_mul_lo_u32 v2, s0, v1
	s_load_dword s0, s[4:5], 0x28
	v_mul_hi_u32 v2, v1, v2
	s_waitcnt lgkmcnt(0)
	s_cmp_lg_u32 s0, s3
	v_add_u32_e32 v1, v1, v2
	v_mul_hi_u32 v1, v3, v1
	v_mul_lo_u32 v1, v1, s6
	v_sub_u32_e32 v1, v3, v1
	v_subrev_u32_e32 v2, s6, v1
	v_cmp_le_u32_e32 vcc, s6, v1
	v_cndmask_b32_e32 v1, v1, v2, vcc
	v_subrev_u32_e32 v2, s6, v1
	v_cmp_le_u32_e32 vcc, s6, v1
	v_cndmask_b32_e32 v1, v1, v2, vcc
	v_xor_b32_e32 v1, v1, v0
	v_sub_u32_e32 v4, v1, v0
	s_mov_b64 s[6:7], -1
	s_cbranch_scc0 .LBB3_13
; %bb.2:
	v_cvt_f32_i32_e32 v1, v4
	s_bitcmp0_b32 s2, 0
	s_cbranch_scc0 .LBB3_4
; %bb.3:
	v_add_f32_e32 v0, 0.5, v1
	v_fma_f32 v0, s1, v0, -0.5
	v_cmp_ngt_f32_e32 vcc, 0, v0
	v_cndmask_b32_e32 v0, 0, v0, vcc
	s_cbranch_execz .LBB3_5
	s_branch .LBB3_6
.LBB3_4:
                                        ; implicit-def: $vgpr0
.LBB3_5:
	v_mul_f32_e32 v0, s1, v1
.LBB3_6:
	s_cmp_lt_i32 s16, 1
	s_cbranch_scc1 .LBB3_12
; %bb.7:
	v_cvt_i32_f32_e32 v2, v0
	s_load_dwordx2 s[6:7], s[4:5], 0x78
	s_load_dwordx4 s[20:23], s[4:5], 0x68
	s_load_dwordx8 s[8:15], s[4:5], 0x30
	v_cvt_f32_i32_e32 v1, v2
	s_add_i32 s19, s0, -1
	s_waitcnt lgkmcnt(0)
	v_mul_lo_u32 v7, s7, v4
	v_ashrrev_i32_e32 v3, 31, v2
	v_sub_f32_e32 v5, v0, v1
	v_ashrrev_i32_e32 v0, 31, v4
	v_mul_lo_u32 v8, s6, v0
	v_mad_u64_u32 v[0:1], s[6:7], s6, v4, 0
	v_cmp_gt_i32_e32 vcc, s19, v2
	v_addc_co_u32_e32 v9, vcc, 0, v2, vcc
	v_add3_u32 v1, v1, v8, v7
	v_mul_lo_u32 v8, s13, v2
	v_mul_lo_u32 v11, s12, v3
	v_mad_u64_u32 v[2:3], s[6:7], s12, v2, 0
	s_load_dwordx2 s[0:1], s[4:5], 0x10
	v_ashrrev_i32_e32 v10, 31, v9
	v_lshlrev_b64 v[0:1], 1, v[0:1]
	v_mul_lo_u32 v12, s12, v10
	v_mul_lo_u32 v13, s13, v9
	v_mad_u64_u32 v[9:10], s[12:13], s12, v9, 0
	v_add3_u32 v3, v3, v11, v8
	v_mov_b32_e32 v7, s15
	v_add_co_u32_e32 v0, vcc, s14, v0
	v_lshlrev_b64 v[2:3], 1, v[2:3]
	v_addc_co_u32_e32 v1, vcc, v7, v1, vcc
	s_waitcnt lgkmcnt(0)
	v_mov_b32_e32 v11, s1
	v_add_co_u32_e32 v7, vcc, s0, v2
	v_add3_u32 v10, v10, v12, v13
	v_addc_co_u32_e32 v8, vcc, v11, v3, vcc
	v_lshlrev_b64 v[2:3], 1, v[9:10]
	s_cmp_gt_i32 s18, 0
	v_add_co_u32_e32 v9, vcc, s0, v2
	s_mov_b32 s17, 0
	s_cselect_b64 s[2:3], -1, 0
	v_sub_f32_e32 v6, 1.0, v5
	s_lshl_b64 s[6:7], s[20:21], 1
	s_lshl_b64 s[14:15], s[22:23], 1
	;; [unrolled: 1-line block ×4, first 2 shown]
	v_addc_co_u32_e32 v10, vcc, v11, v3, vcc
	s_movk_i32 s19, 0x7fff
	v_mov_b32_e32 v11, 0x7fc0
	s_branch .LBB3_9
.LBB3_8:                                ;   in Loop: Header=BB3_9 Depth=1
	v_mov_b32_e32 v2, s7
	v_add_co_u32_e32 v0, vcc, s6, v0
	v_addc_co_u32_e32 v1, vcc, v1, v2, vcc
	v_mov_b32_e32 v2, s9
	v_add_co_u32_e32 v7, vcc, s8, v7
	v_addc_co_u32_e32 v8, vcc, v8, v2, vcc
	s_add_i32 s17, s17, 1
	v_add_co_u32_e32 v9, vcc, s8, v9
	s_cmp_eq_u32 s17, s16
	v_addc_co_u32_e32 v10, vcc, v10, v2, vcc
	s_cbranch_scc1 .LBB3_12
.LBB3_9:                                ; =>This Loop Header: Depth=1
                                        ;     Child Loop BB3_11 Depth 2
	s_andn2_b64 vcc, exec, s[2:3]
	s_cbranch_vccnz .LBB3_8
; %bb.10:                               ;   in Loop: Header=BB3_9 Depth=1
	v_mov_b32_e32 v3, v1
	s_mov_b64 s[12:13], 0
	v_mov_b32_e32 v2, v0
	s_mov_b32 s20, s18
.LBB3_11:                               ;   Parent Loop BB3_9 Depth=1
                                        ; =>  This Inner Loop Header: Depth=2
	v_mov_b32_e32 v13, s13
	v_add_co_u32_e32 v12, vcc, s12, v9
	v_add_co_u32_e64 v14, s[0:1], s12, v7
	v_addc_co_u32_e64 v15, s[0:1], v8, v13, s[0:1]
	v_addc_co_u32_e32 v13, vcc, v10, v13, vcc
	global_load_ushort v16, v[12:13], off
	global_load_ushort v17, v[14:15], off
	s_add_i32 s20, s20, -1
	s_add_u32 s12, s12, s10
	v_mov_b32_e32 v12, s15
	s_addc_u32 s13, s13, s11
	s_cmp_eq_u32 s20, 0
	s_waitcnt vmcnt(1)
	v_lshlrev_b32_e32 v14, 16, v16
	s_waitcnt vmcnt(0)
	v_lshlrev_b32_e32 v13, 16, v17
	v_mul_f32_e32 v14, v5, v14
	v_fmac_f32_e32 v14, v6, v13
	v_bfe_u32 v13, v14, 16, 1
	v_add3_u32 v13, v14, v13, s19
	v_lshrrev_b32_e32 v13, 16, v13
	v_cmp_o_f32_e32 vcc, v14, v14
	v_cndmask_b32_e32 v13, v11, v13, vcc
	global_store_short v[2:3], v13, off
	v_add_co_u32_e32 v2, vcc, s14, v2
	v_addc_co_u32_e32 v3, vcc, v3, v12, vcc
	s_cbranch_scc0 .LBB3_11
	s_branch .LBB3_8
.LBB3_12:
	s_mov_b64 s[6:7], 0
.LBB3_13:
	s_and_b64 vcc, exec, s[6:7]
	s_cbranch_vccz .LBB3_19
; %bb.14:
	s_cmp_lt_i32 s16, 1
	s_cbranch_scc1 .LBB3_19
; %bb.15:
	s_load_dwordx8 s[8:15], s[4:5], 0x30
	v_ashrrev_i32_e32 v2, 31, v4
	s_load_dwordx2 s[2:3], s[4:5], 0x78
	s_cmp_gt_i32 s18, 0
	s_mov_b32 s17, 0
	s_waitcnt lgkmcnt(0)
	v_mul_lo_u32 v3, s13, v4
	v_mul_lo_u32 v5, s12, v2
	v_mad_u64_u32 v[0:1], s[0:1], s12, v4, 0
	s_load_dwordx2 s[0:1], s[4:5], 0x10
	s_load_dwordx4 s[20:23], s[4:5], 0x68
	v_add3_u32 v1, v1, v5, v3
	v_mul_lo_u32 v6, s3, v4
	v_mul_lo_u32 v7, s2, v2
	v_mad_u64_u32 v[2:3], s[2:3], s2, v4, 0
	v_lshlrev_b64 v[0:1], 1, v[0:1]
	s_waitcnt lgkmcnt(0)
	v_mov_b32_e32 v5, s1
	v_add3_u32 v3, v3, v7, v6
	v_add_co_u32_e32 v0, vcc, s0, v0
	v_lshlrev_b64 v[2:3], 1, v[2:3]
	v_addc_co_u32_e32 v1, vcc, v5, v1, vcc
	s_cselect_b64 s[12:13], -1, 0
	v_mov_b32_e32 v4, s15
	v_add_co_u32_e32 v2, vcc, s14, v2
	v_addc_co_u32_e32 v3, vcc, v4, v3, vcc
	v_cndmask_b32_e64 v4, 0, 1, s[12:13]
	s_lshl_b64 s[2:3], s[20:21], 1
	s_lshl_b64 s[4:5], s[22:23], 1
	;; [unrolled: 1-line block ×4, first 2 shown]
	v_cmp_ne_u32_e64 s[0:1], 1, v4
	s_branch .LBB3_17
.LBB3_16:                               ;   in Loop: Header=BB3_17 Depth=1
	v_mov_b32_e32 v4, s3
	v_add_co_u32_e32 v2, vcc, s2, v2
	v_addc_co_u32_e32 v3, vcc, v3, v4, vcc
	s_add_i32 s17, s17, 1
	v_mov_b32_e32 v4, s7
	v_add_co_u32_e32 v0, vcc, s6, v0
	s_cmp_eq_u32 s17, s16
	v_addc_co_u32_e32 v1, vcc, v1, v4, vcc
	s_cbranch_scc1 .LBB3_19
.LBB3_17:                               ; =>This Loop Header: Depth=1
                                        ;     Child Loop BB3_18 Depth 2
	v_mov_b32_e32 v5, v1
	v_mov_b32_e32 v7, v3
	s_and_b64 vcc, exec, s[0:1]
	v_mov_b32_e32 v4, v0
	v_mov_b32_e32 v6, v2
	s_mov_b32 s10, s18
	s_cbranch_vccnz .LBB3_16
.LBB3_18:                               ;   Parent Loop BB3_17 Depth=1
                                        ; =>  This Inner Loop Header: Depth=2
	global_load_ushort v8, v[4:5], off
	v_mov_b32_e32 v10, s9
	v_add_co_u32_e32 v4, vcc, s8, v4
	v_addc_co_u32_e32 v5, vcc, v5, v10, vcc
	s_add_i32 s10, s10, -1
	v_mov_b32_e32 v9, s5
	s_cmp_eq_u32 s10, 0
	s_waitcnt vmcnt(0)
	global_store_short v[6:7], v8, off
	v_add_co_u32_e32 v6, vcc, s4, v6
	v_addc_co_u32_e32 v7, vcc, v7, v9, vcc
	s_cbranch_scc0 .LBB3_18
	s_branch .LBB3_16
.LBB3_19:
	s_endpgm
	.section	.rodata,"a",@progbits
	.p2align	6, 0x0
	.amdhsa_kernel _ZN2at6native12_GLOBAL__N_127upsample_linear1d_out_frameIN3c108BFloat16EfEEviT0_bN5torch10headeronly6detail27GenericPackedTensorAccessorINS8_14TensorAccessorINS3_8ArrayRefIlEEKT_Lm2ENS7_16DefaultPtrTraitsElEENS_6detail16IndexBoundsCheckILm3ElEESE_Lm3ESF_lEENS9_INSA_ISC_SD_Lm2ESF_lEESJ_SD_Lm3ESF_lEE
		.amdhsa_group_segment_fixed_size 0
		.amdhsa_private_segment_fixed_size 0
		.amdhsa_kernarg_size 384
		.amdhsa_user_sgpr_count 6
		.amdhsa_user_sgpr_private_segment_buffer 1
		.amdhsa_user_sgpr_dispatch_ptr 0
		.amdhsa_user_sgpr_queue_ptr 0
		.amdhsa_user_sgpr_kernarg_segment_ptr 1
		.amdhsa_user_sgpr_dispatch_id 0
		.amdhsa_user_sgpr_flat_scratch_init 0
		.amdhsa_user_sgpr_private_segment_size 0
		.amdhsa_uses_dynamic_stack 0
		.amdhsa_system_sgpr_private_segment_wavefront_offset 0
		.amdhsa_system_sgpr_workgroup_id_x 1
		.amdhsa_system_sgpr_workgroup_id_y 0
		.amdhsa_system_sgpr_workgroup_id_z 0
		.amdhsa_system_sgpr_workgroup_info 0
		.amdhsa_system_vgpr_workitem_id 0
		.amdhsa_next_free_vgpr 18
		.amdhsa_next_free_sgpr 24
		.amdhsa_reserve_vcc 1
		.amdhsa_reserve_flat_scratch 0
		.amdhsa_float_round_mode_32 0
		.amdhsa_float_round_mode_16_64 0
		.amdhsa_float_denorm_mode_32 3
		.amdhsa_float_denorm_mode_16_64 3
		.amdhsa_dx10_clamp 1
		.amdhsa_ieee_mode 1
		.amdhsa_fp16_overflow 0
		.amdhsa_exception_fp_ieee_invalid_op 0
		.amdhsa_exception_fp_denorm_src 0
		.amdhsa_exception_fp_ieee_div_zero 0
		.amdhsa_exception_fp_ieee_overflow 0
		.amdhsa_exception_fp_ieee_underflow 0
		.amdhsa_exception_fp_ieee_inexact 0
		.amdhsa_exception_int_div_zero 0
	.end_amdhsa_kernel
	.section	.text._ZN2at6native12_GLOBAL__N_127upsample_linear1d_out_frameIN3c108BFloat16EfEEviT0_bN5torch10headeronly6detail27GenericPackedTensorAccessorINS8_14TensorAccessorINS3_8ArrayRefIlEEKT_Lm2ENS7_16DefaultPtrTraitsElEENS_6detail16IndexBoundsCheckILm3ElEESE_Lm3ESF_lEENS9_INSA_ISC_SD_Lm2ESF_lEESJ_SD_Lm3ESF_lEE,"axG",@progbits,_ZN2at6native12_GLOBAL__N_127upsample_linear1d_out_frameIN3c108BFloat16EfEEviT0_bN5torch10headeronly6detail27GenericPackedTensorAccessorINS8_14TensorAccessorINS3_8ArrayRefIlEEKT_Lm2ENS7_16DefaultPtrTraitsElEENS_6detail16IndexBoundsCheckILm3ElEESE_Lm3ESF_lEENS9_INSA_ISC_SD_Lm2ESF_lEESJ_SD_Lm3ESF_lEE,comdat
.Lfunc_end3:
	.size	_ZN2at6native12_GLOBAL__N_127upsample_linear1d_out_frameIN3c108BFloat16EfEEviT0_bN5torch10headeronly6detail27GenericPackedTensorAccessorINS8_14TensorAccessorINS3_8ArrayRefIlEEKT_Lm2ENS7_16DefaultPtrTraitsElEENS_6detail16IndexBoundsCheckILm3ElEESE_Lm3ESF_lEENS9_INSA_ISC_SD_Lm2ESF_lEESJ_SD_Lm3ESF_lEE, .Lfunc_end3-_ZN2at6native12_GLOBAL__N_127upsample_linear1d_out_frameIN3c108BFloat16EfEEviT0_bN5torch10headeronly6detail27GenericPackedTensorAccessorINS8_14TensorAccessorINS3_8ArrayRefIlEEKT_Lm2ENS7_16DefaultPtrTraitsElEENS_6detail16IndexBoundsCheckILm3ElEESE_Lm3ESF_lEENS9_INSA_ISC_SD_Lm2ESF_lEESJ_SD_Lm3ESF_lEE
                                        ; -- End function
	.set _ZN2at6native12_GLOBAL__N_127upsample_linear1d_out_frameIN3c108BFloat16EfEEviT0_bN5torch10headeronly6detail27GenericPackedTensorAccessorINS8_14TensorAccessorINS3_8ArrayRefIlEEKT_Lm2ENS7_16DefaultPtrTraitsElEENS_6detail16IndexBoundsCheckILm3ElEESE_Lm3ESF_lEENS9_INSA_ISC_SD_Lm2ESF_lEESJ_SD_Lm3ESF_lEE.num_vgpr, 18
	.set _ZN2at6native12_GLOBAL__N_127upsample_linear1d_out_frameIN3c108BFloat16EfEEviT0_bN5torch10headeronly6detail27GenericPackedTensorAccessorINS8_14TensorAccessorINS3_8ArrayRefIlEEKT_Lm2ENS7_16DefaultPtrTraitsElEENS_6detail16IndexBoundsCheckILm3ElEESE_Lm3ESF_lEENS9_INSA_ISC_SD_Lm2ESF_lEESJ_SD_Lm3ESF_lEE.num_agpr, 0
	.set _ZN2at6native12_GLOBAL__N_127upsample_linear1d_out_frameIN3c108BFloat16EfEEviT0_bN5torch10headeronly6detail27GenericPackedTensorAccessorINS8_14TensorAccessorINS3_8ArrayRefIlEEKT_Lm2ENS7_16DefaultPtrTraitsElEENS_6detail16IndexBoundsCheckILm3ElEESE_Lm3ESF_lEENS9_INSA_ISC_SD_Lm2ESF_lEESJ_SD_Lm3ESF_lEE.numbered_sgpr, 24
	.set _ZN2at6native12_GLOBAL__N_127upsample_linear1d_out_frameIN3c108BFloat16EfEEviT0_bN5torch10headeronly6detail27GenericPackedTensorAccessorINS8_14TensorAccessorINS3_8ArrayRefIlEEKT_Lm2ENS7_16DefaultPtrTraitsElEENS_6detail16IndexBoundsCheckILm3ElEESE_Lm3ESF_lEENS9_INSA_ISC_SD_Lm2ESF_lEESJ_SD_Lm3ESF_lEE.num_named_barrier, 0
	.set _ZN2at6native12_GLOBAL__N_127upsample_linear1d_out_frameIN3c108BFloat16EfEEviT0_bN5torch10headeronly6detail27GenericPackedTensorAccessorINS8_14TensorAccessorINS3_8ArrayRefIlEEKT_Lm2ENS7_16DefaultPtrTraitsElEENS_6detail16IndexBoundsCheckILm3ElEESE_Lm3ESF_lEENS9_INSA_ISC_SD_Lm2ESF_lEESJ_SD_Lm3ESF_lEE.private_seg_size, 0
	.set _ZN2at6native12_GLOBAL__N_127upsample_linear1d_out_frameIN3c108BFloat16EfEEviT0_bN5torch10headeronly6detail27GenericPackedTensorAccessorINS8_14TensorAccessorINS3_8ArrayRefIlEEKT_Lm2ENS7_16DefaultPtrTraitsElEENS_6detail16IndexBoundsCheckILm3ElEESE_Lm3ESF_lEENS9_INSA_ISC_SD_Lm2ESF_lEESJ_SD_Lm3ESF_lEE.uses_vcc, 1
	.set _ZN2at6native12_GLOBAL__N_127upsample_linear1d_out_frameIN3c108BFloat16EfEEviT0_bN5torch10headeronly6detail27GenericPackedTensorAccessorINS8_14TensorAccessorINS3_8ArrayRefIlEEKT_Lm2ENS7_16DefaultPtrTraitsElEENS_6detail16IndexBoundsCheckILm3ElEESE_Lm3ESF_lEENS9_INSA_ISC_SD_Lm2ESF_lEESJ_SD_Lm3ESF_lEE.uses_flat_scratch, 0
	.set _ZN2at6native12_GLOBAL__N_127upsample_linear1d_out_frameIN3c108BFloat16EfEEviT0_bN5torch10headeronly6detail27GenericPackedTensorAccessorINS8_14TensorAccessorINS3_8ArrayRefIlEEKT_Lm2ENS7_16DefaultPtrTraitsElEENS_6detail16IndexBoundsCheckILm3ElEESE_Lm3ESF_lEENS9_INSA_ISC_SD_Lm2ESF_lEESJ_SD_Lm3ESF_lEE.has_dyn_sized_stack, 0
	.set _ZN2at6native12_GLOBAL__N_127upsample_linear1d_out_frameIN3c108BFloat16EfEEviT0_bN5torch10headeronly6detail27GenericPackedTensorAccessorINS8_14TensorAccessorINS3_8ArrayRefIlEEKT_Lm2ENS7_16DefaultPtrTraitsElEENS_6detail16IndexBoundsCheckILm3ElEESE_Lm3ESF_lEENS9_INSA_ISC_SD_Lm2ESF_lEESJ_SD_Lm3ESF_lEE.has_recursion, 0
	.set _ZN2at6native12_GLOBAL__N_127upsample_linear1d_out_frameIN3c108BFloat16EfEEviT0_bN5torch10headeronly6detail27GenericPackedTensorAccessorINS8_14TensorAccessorINS3_8ArrayRefIlEEKT_Lm2ENS7_16DefaultPtrTraitsElEENS_6detail16IndexBoundsCheckILm3ElEESE_Lm3ESF_lEENS9_INSA_ISC_SD_Lm2ESF_lEESJ_SD_Lm3ESF_lEE.has_indirect_call, 0
	.section	.AMDGPU.csdata,"",@progbits
; Kernel info:
; codeLenInByte = 1084
; TotalNumSgprs: 28
; NumVgprs: 18
; ScratchSize: 0
; MemoryBound: 0
; FloatMode: 240
; IeeeMode: 1
; LDSByteSize: 0 bytes/workgroup (compile time only)
; SGPRBlocks: 3
; VGPRBlocks: 4
; NumSGPRsForWavesPerEU: 28
; NumVGPRsForWavesPerEU: 18
; Occupancy: 10
; WaveLimiterHint : 1
; COMPUTE_PGM_RSRC2:SCRATCH_EN: 0
; COMPUTE_PGM_RSRC2:USER_SGPR: 6
; COMPUTE_PGM_RSRC2:TRAP_HANDLER: 0
; COMPUTE_PGM_RSRC2:TGID_X_EN: 1
; COMPUTE_PGM_RSRC2:TGID_Y_EN: 0
; COMPUTE_PGM_RSRC2:TGID_Z_EN: 0
; COMPUTE_PGM_RSRC2:TIDIG_COMP_CNT: 0
	.section	.text._ZN2at6native12_GLOBAL__N_136upsample_linear1d_out_frame_backwardIddEEviT0_bN5torch10headeronly6detail27GenericPackedTensorAccessorINS6_14TensorAccessorIN3c108ArrayRefIlEET_Lm2ENS5_16DefaultPtrTraitsElEENS_6detail16IndexBoundsCheckILm3ElEESC_Lm3ESD_lEENS7_INS8_ISB_KSC_Lm2ESD_lEESH_SJ_Lm3ESD_lEE,"axG",@progbits,_ZN2at6native12_GLOBAL__N_136upsample_linear1d_out_frame_backwardIddEEviT0_bN5torch10headeronly6detail27GenericPackedTensorAccessorINS6_14TensorAccessorIN3c108ArrayRefIlEET_Lm2ENS5_16DefaultPtrTraitsElEENS_6detail16IndexBoundsCheckILm3ElEESC_Lm3ESD_lEENS7_INS8_ISB_KSC_Lm2ESD_lEESH_SJ_Lm3ESD_lEE,comdat
	.globl	_ZN2at6native12_GLOBAL__N_136upsample_linear1d_out_frame_backwardIddEEviT0_bN5torch10headeronly6detail27GenericPackedTensorAccessorINS6_14TensorAccessorIN3c108ArrayRefIlEET_Lm2ENS5_16DefaultPtrTraitsElEENS_6detail16IndexBoundsCheckILm3ElEESC_Lm3ESD_lEENS7_INS8_ISB_KSC_Lm2ESD_lEESH_SJ_Lm3ESD_lEE ; -- Begin function _ZN2at6native12_GLOBAL__N_136upsample_linear1d_out_frame_backwardIddEEviT0_bN5torch10headeronly6detail27GenericPackedTensorAccessorINS6_14TensorAccessorIN3c108ArrayRefIlEET_Lm2ENS5_16DefaultPtrTraitsElEENS_6detail16IndexBoundsCheckILm3ElEESC_Lm3ESD_lEENS7_INS8_ISB_KSC_Lm2ESD_lEESH_SJ_Lm3ESD_lEE
	.p2align	8
	.type	_ZN2at6native12_GLOBAL__N_136upsample_linear1d_out_frame_backwardIddEEviT0_bN5torch10headeronly6detail27GenericPackedTensorAccessorINS6_14TensorAccessorIN3c108ArrayRefIlEET_Lm2ENS5_16DefaultPtrTraitsElEENS_6detail16IndexBoundsCheckILm3ElEESC_Lm3ESD_lEENS7_INS8_ISB_KSC_Lm2ESD_lEESH_SJ_Lm3ESD_lEE,@function
_ZN2at6native12_GLOBAL__N_136upsample_linear1d_out_frame_backwardIddEEviT0_bN5torch10headeronly6detail27GenericPackedTensorAccessorINS6_14TensorAccessorIN3c108ArrayRefIlEET_Lm2ENS5_16DefaultPtrTraitsElEENS_6detail16IndexBoundsCheckILm3ElEESC_Lm3ESD_lEENS7_INS8_ISB_KSC_Lm2ESD_lEESH_SJ_Lm3ESD_lEE: ; @_ZN2at6native12_GLOBAL__N_136upsample_linear1d_out_frame_backwardIddEEviT0_bN5torch10headeronly6detail27GenericPackedTensorAccessorINS6_14TensorAccessorIN3c108ArrayRefIlEET_Lm2ENS5_16DefaultPtrTraitsElEENS_6detail16IndexBoundsCheckILm3ElEESC_Lm3ESD_lEENS7_INS8_ISB_KSC_Lm2ESD_lEESH_SJ_Lm3ESD_lEE
; %bb.0:
	s_load_dword s0, s[4:5], 0x94
	s_load_dword s1, s[4:5], 0x0
	s_waitcnt lgkmcnt(0)
	s_and_b32 s0, s0, 0xffff
	s_mul_i32 s6, s6, s0
	v_add_u32_e32 v0, s6, v0
	v_cmp_gt_i32_e32 vcc, s1, v0
	s_and_saveexec_b64 s[0:1], vcc
	s_cbranch_execz .LBB4_23
; %bb.1:
	s_load_dword s0, s[4:5], 0x68
	s_load_dword s6, s[4:5], 0x30
	s_load_dwordx4 s[16:19], s[4:5], 0x20
	v_sub_u32_e32 v3, 0, v0
	v_max_i32_e32 v3, v0, v3
	s_waitcnt lgkmcnt(0)
	s_abs_i32 s1, s0
	v_cvt_f32_u32_e32 v1, s1
	s_sub_i32 s2, 0, s1
	v_ashrrev_i32_e32 v0, 31, v0
	s_cmp_lg_u32 s6, s0
	v_rcp_iflag_f32_e32 v1, v1
	v_mul_f32_e32 v1, 0x4f7ffffe, v1
	v_cvt_u32_f32_e32 v1, v1
	v_mul_lo_u32 v2, s2, v1
	v_mul_hi_u32 v2, v1, v2
	v_add_u32_e32 v1, v1, v2
	v_mul_hi_u32 v1, v3, v1
	v_mul_lo_u32 v1, v1, s1
	v_sub_u32_e32 v1, v3, v1
	v_subrev_u32_e32 v2, s1, v1
	v_cmp_le_u32_e32 vcc, s1, v1
	v_cndmask_b32_e32 v1, v1, v2, vcc
	v_subrev_u32_e32 v2, s1, v1
	v_cmp_le_u32_e32 vcc, s1, v1
	v_cndmask_b32_e32 v1, v1, v2, vcc
	v_xor_b32_e32 v1, v1, v0
	v_sub_u32_e32 v12, v1, v0
	s_mov_b64 s[0:1], -1
	s_cbranch_scc0 .LBB4_17
; %bb.2:
	s_load_dword s2, s[4:5], 0x10
	s_load_dwordx2 s[0:1], s[4:5], 0x8
	v_cvt_f64_i32_e32 v[2:3], v12
	s_waitcnt lgkmcnt(0)
	s_bitcmp0_b32 s2, 0
	s_cbranch_scc0 .LBB4_4
; %bb.3:
	v_add_f64 v[0:1], v[2:3], 0.5
	v_fma_f64 v[0:1], s[0:1], v[0:1], -0.5
	v_cmp_ngt_f64_e32 vcc, 0, v[0:1]
	v_cndmask_b32_e32 v1, 0, v1, vcc
	v_cndmask_b32_e32 v0, 0, v0, vcc
	s_cbranch_execz .LBB4_5
	s_branch .LBB4_6
.LBB4_4:
                                        ; implicit-def: $vgpr0_vgpr1
.LBB4_5:
	v_mul_f64 v[0:1], s[0:1], v[2:3]
.LBB4_6:
	s_cmp_lt_i32 s16, 1
	s_cbranch_scc1 .LBB4_16
; %bb.7:
	s_add_i32 s19, s6, -1
	s_load_dwordx2 s[20:21], s[4:5], 0x18
	s_load_dwordx2 s[6:7], s[4:5], 0x80
	v_cvt_i32_f64_e32 v8, v[0:1]
	v_ashrrev_i32_e32 v4, 31, v12
	s_load_dwordx8 s[8:15], s[4:5], 0x38
	s_load_dwordx4 s[0:3], s[4:5], 0x70
	s_cmp_gt_i32 s18, 0
	v_cvt_f64_i32_e32 v[2:3], v8
	s_waitcnt lgkmcnt(0)
	v_mul_lo_u32 v9, s7, v12
	v_mul_lo_u32 v10, s6, v4
	v_mad_u64_u32 v[6:7], s[6:7], s6, v12, 0
	v_add_f64 v[4:5], v[0:1], -v[2:3]
	v_ashrrev_i32_e32 v2, 31, v8
	v_add3_u32 v7, v7, v10, v9
	v_lshlrev_b64 v[0:1], 3, v[6:7]
	v_mul_lo_u32 v7, s13, v8
	v_mul_lo_u32 v9, s12, v2
	v_mad_u64_u32 v[2:3], s[22:23], s12, v8, 0
	v_mov_b32_e32 v6, s15
	v_add_co_u32_e32 v13, vcc, s14, v0
	v_addc_co_u32_e32 v14, vcc, v6, v1, vcc
	v_add3_u32 v3, v3, v9, v7
	v_cmp_gt_i32_e32 vcc, s19, v8
	v_lshlrev_b64 v[0:1], 3, v[2:3]
	v_addc_co_u32_e32 v2, vcc, 0, v8, vcc
	v_ashrrev_i32_e32 v3, 31, v2
	v_mul_lo_u32 v7, s12, v3
	v_mul_lo_u32 v8, s13, v2
	v_mad_u64_u32 v[2:3], s[12:13], s12, v2, 0
	v_mov_b32_e32 v6, s21
	v_add_co_u32_e32 v15, vcc, s20, v0
	v_add3_u32 v3, v3, v7, v8
	v_addc_co_u32_e32 v16, vcc, v6, v1, vcc
	v_lshlrev_b64 v[0:1], 3, v[2:3]
	s_mov_b32 s17, 0
	v_add_co_u32_e32 v17, vcc, s20, v0
	s_cselect_b64 s[6:7], -1, 0
	v_addc_co_u32_e32 v18, vcc, v6, v1, vcc
	s_branch .LBB4_9
.LBB4_8:                                ;   in Loop: Header=BB4_9 Depth=1
	s_add_i32 s17, s17, 1
	s_cmp_eq_u32 s17, s16
	s_cbranch_scc1 .LBB4_16
.LBB4_9:                                ; =>This Loop Header: Depth=1
                                        ;     Child Loop BB4_11 Depth 2
                                        ;       Child Loop BB4_12 Depth 3
                                        ;       Child Loop BB4_14 Depth 3
	s_andn2_b64 vcc, exec, s[6:7]
	s_cbranch_vccnz .LBB4_8
; %bb.10:                               ;   in Loop: Header=BB4_9 Depth=1
	s_mul_i32 s12, s1, s17
	s_mul_hi_u32 s13, s0, s17
	s_add_i32 s13, s13, s12
	s_mul_i32 s12, s0, s17
	s_lshl_b64 s[12:13], s[12:13], 3
	v_mov_b32_e32 v0, s13
	v_add_co_u32_e32 v19, vcc, s12, v13
	s_mul_i32 s12, s9, s17
	s_mul_hi_u32 s13, s8, s17
	s_add_i32 s13, s13, s12
	s_mul_i32 s12, s8, s17
	v_addc_co_u32_e32 v20, vcc, v14, v0, vcc
	s_lshl_b64 s[12:13], s[12:13], 3
	v_mov_b32_e32 v0, s13
	v_add_co_u32_e32 v21, vcc, s12, v15
	v_addc_co_u32_e32 v22, vcc, v16, v0, vcc
	v_add_co_u32_e32 v23, vcc, s12, v17
	v_addc_co_u32_e32 v24, vcc, v18, v0, vcc
	s_mov_b32 s19, 0
.LBB4_11:                               ;   Parent Loop BB4_9 Depth=1
                                        ; =>  This Loop Header: Depth=2
                                        ;       Child Loop BB4_12 Depth 3
                                        ;       Child Loop BB4_14 Depth 3
	s_mul_i32 s12, s3, s19
	s_mul_hi_u32 s13, s2, s19
	s_add_i32 s13, s13, s12
	s_mul_i32 s12, s2, s19
	s_lshl_b64 s[12:13], s[12:13], 3
	v_mov_b32_e32 v1, s13
	v_add_co_u32_e32 v0, vcc, s12, v19
	v_addc_co_u32_e32 v1, vcc, v20, v1, vcc
	global_load_dwordx2 v[6:7], v[0:1], off
	s_mul_i32 s12, s11, s19
	s_mul_hi_u32 s13, s10, s19
	s_add_i32 s13, s13, s12
	s_mul_i32 s12, s10, s19
	s_lshl_b64 s[12:13], s[12:13], 3
	v_mov_b32_e32 v0, s13
	v_add_co_u32_e32 v8, vcc, s12, v21
	v_addc_co_u32_e32 v9, vcc, v22, v0, vcc
	global_load_dwordx2 v[2:3], v[8:9], off
	v_add_f64 v[0:1], -v[4:5], 1.0
	s_mov_b64 s[14:15], 0
	s_waitcnt vmcnt(1)
	v_mul_f64 v[10:11], v[0:1], v[6:7]
.LBB4_12:                               ;   Parent Loop BB4_9 Depth=1
                                        ;     Parent Loop BB4_11 Depth=2
                                        ; =>    This Inner Loop Header: Depth=3
	s_waitcnt vmcnt(0)
	v_add_f64 v[0:1], v[2:3], v[10:11]
	global_atomic_cmpswap_x2 v[0:1], v[8:9], v[0:3], off glc
	s_waitcnt vmcnt(0)
	v_cmp_eq_u64_e32 vcc, v[0:1], v[2:3]
	v_mov_b32_e32 v3, v1
	s_or_b64 s[14:15], vcc, s[14:15]
	v_mov_b32_e32 v2, v0
	s_andn2_b64 exec, exec, s[14:15]
	s_cbranch_execnz .LBB4_12
; %bb.13:                               ;   in Loop: Header=BB4_11 Depth=2
	s_or_b64 exec, exec, s[14:15]
	v_mov_b32_e32 v0, s13
	v_add_co_u32_e32 v8, vcc, s12, v23
	v_addc_co_u32_e32 v9, vcc, v24, v0, vcc
	global_load_dwordx2 v[2:3], v[8:9], off
	v_mul_f64 v[6:7], v[4:5], v[6:7]
	s_mov_b64 s[12:13], 0
.LBB4_14:                               ;   Parent Loop BB4_9 Depth=1
                                        ;     Parent Loop BB4_11 Depth=2
                                        ; =>    This Inner Loop Header: Depth=3
	s_waitcnt vmcnt(0)
	v_add_f64 v[0:1], v[2:3], v[6:7]
	global_atomic_cmpswap_x2 v[0:1], v[8:9], v[0:3], off glc
	s_waitcnt vmcnt(0)
	v_cmp_eq_u64_e32 vcc, v[0:1], v[2:3]
	v_mov_b32_e32 v3, v1
	s_or_b64 s[12:13], vcc, s[12:13]
	v_mov_b32_e32 v2, v0
	s_andn2_b64 exec, exec, s[12:13]
	s_cbranch_execnz .LBB4_14
; %bb.15:                               ;   in Loop: Header=BB4_11 Depth=2
	s_or_b64 exec, exec, s[12:13]
	s_add_i32 s19, s19, 1
	s_cmp_eq_u32 s19, s18
	s_cbranch_scc0 .LBB4_11
	s_branch .LBB4_8
.LBB4_16:
	s_mov_b64 s[0:1], 0
.LBB4_17:
	s_and_b64 vcc, exec, s[0:1]
	s_cbranch_vccz .LBB4_23
; %bb.18:
	s_cmp_lt_i32 s16, 1
	s_cbranch_scc1 .LBB4_23
; %bb.19:
	s_load_dwordx2 s[0:1], s[4:5], 0x80
	s_load_dwordx4 s[12:15], s[4:5], 0x70
	v_ashrrev_i32_e32 v2, 31, v12
	s_load_dwordx8 s[20:27], s[4:5], 0x38
	s_load_dwordx2 s[2:3], s[4:5], 0x18
	s_waitcnt lgkmcnt(0)
	v_mul_lo_u32 v3, s1, v12
	v_mul_lo_u32 v4, s0, v2
	v_mad_u64_u32 v[0:1], s[0:1], s0, v12, 0
	v_mul_lo_u32 v5, s25, v12
	v_mul_lo_u32 v6, s24, v2
	v_add3_u32 v1, v1, v4, v3
	v_mad_u64_u32 v[2:3], s[4:5], s24, v12, 0
	v_lshlrev_b64 v[0:1], 3, v[0:1]
	v_mov_b32_e32 v4, s27
	v_add3_u32 v3, v3, v6, v5
	v_add_co_u32_e32 v0, vcc, s26, v0
	v_lshlrev_b64 v[2:3], 3, v[2:3]
	s_cmp_gt_i32 s18, 0
	v_addc_co_u32_e32 v1, vcc, v4, v1, vcc
	s_cselect_b64 s[0:1], -1, 0
	v_mov_b32_e32 v4, s3
	v_add_co_u32_e32 v2, vcc, s2, v2
	v_addc_co_u32_e32 v3, vcc, v4, v3, vcc
	v_cndmask_b32_e64 v4, 0, 1, s[0:1]
	s_mov_b32 s10, 0
	s_lshl_b64 s[2:3], s[20:21], 3
	s_lshl_b64 s[4:5], s[22:23], 3
	;; [unrolled: 1-line block ×4, first 2 shown]
	v_cmp_ne_u32_e64 s[0:1], 1, v4
	s_branch .LBB4_21
.LBB4_20:                               ;   in Loop: Header=BB4_21 Depth=1
	v_mov_b32_e32 v4, s3
	v_add_co_u32_e32 v2, vcc, s2, v2
	v_addc_co_u32_e32 v3, vcc, v3, v4, vcc
	s_add_i32 s10, s10, 1
	v_mov_b32_e32 v4, s7
	v_add_co_u32_e32 v0, vcc, s6, v0
	s_cmp_eq_u32 s10, s16
	v_addc_co_u32_e32 v1, vcc, v1, v4, vcc
	s_cbranch_scc1 .LBB4_23
.LBB4_21:                               ; =>This Loop Header: Depth=1
                                        ;     Child Loop BB4_22 Depth 2
	v_mov_b32_e32 v5, v1
	v_mov_b32_e32 v7, v3
	s_and_b64 vcc, exec, s[0:1]
	v_mov_b32_e32 v4, v0
	v_mov_b32_e32 v6, v2
	s_mov_b32 s11, s18
	s_cbranch_vccnz .LBB4_20
.LBB4_22:                               ;   Parent Loop BB4_21 Depth=1
                                        ; =>  This Inner Loop Header: Depth=2
	global_load_dwordx2 v[8:9], v[4:5], off
	v_mov_b32_e32 v11, s9
	v_add_co_u32_e32 v4, vcc, s8, v4
	v_addc_co_u32_e32 v5, vcc, v5, v11, vcc
	s_add_i32 s11, s11, -1
	v_mov_b32_e32 v10, s5
	s_cmp_eq_u32 s11, 0
	s_waitcnt vmcnt(0)
	global_store_dwordx2 v[6:7], v[8:9], off
	v_add_co_u32_e32 v6, vcc, s4, v6
	v_addc_co_u32_e32 v7, vcc, v7, v10, vcc
	s_cbranch_scc0 .LBB4_22
	s_branch .LBB4_20
.LBB4_23:
	s_endpgm
	.section	.rodata,"a",@progbits
	.p2align	6, 0x0
	.amdhsa_kernel _ZN2at6native12_GLOBAL__N_136upsample_linear1d_out_frame_backwardIddEEviT0_bN5torch10headeronly6detail27GenericPackedTensorAccessorINS6_14TensorAccessorIN3c108ArrayRefIlEET_Lm2ENS5_16DefaultPtrTraitsElEENS_6detail16IndexBoundsCheckILm3ElEESC_Lm3ESD_lEENS7_INS8_ISB_KSC_Lm2ESD_lEESH_SJ_Lm3ESD_lEE
		.amdhsa_group_segment_fixed_size 0
		.amdhsa_private_segment_fixed_size 0
		.amdhsa_kernarg_size 392
		.amdhsa_user_sgpr_count 6
		.amdhsa_user_sgpr_private_segment_buffer 1
		.amdhsa_user_sgpr_dispatch_ptr 0
		.amdhsa_user_sgpr_queue_ptr 0
		.amdhsa_user_sgpr_kernarg_segment_ptr 1
		.amdhsa_user_sgpr_dispatch_id 0
		.amdhsa_user_sgpr_flat_scratch_init 0
		.amdhsa_user_sgpr_private_segment_size 0
		.amdhsa_uses_dynamic_stack 0
		.amdhsa_system_sgpr_private_segment_wavefront_offset 0
		.amdhsa_system_sgpr_workgroup_id_x 1
		.amdhsa_system_sgpr_workgroup_id_y 0
		.amdhsa_system_sgpr_workgroup_id_z 0
		.amdhsa_system_sgpr_workgroup_info 0
		.amdhsa_system_vgpr_workitem_id 0
		.amdhsa_next_free_vgpr 25
		.amdhsa_next_free_sgpr 28
		.amdhsa_reserve_vcc 1
		.amdhsa_reserve_flat_scratch 0
		.amdhsa_float_round_mode_32 0
		.amdhsa_float_round_mode_16_64 0
		.amdhsa_float_denorm_mode_32 3
		.amdhsa_float_denorm_mode_16_64 3
		.amdhsa_dx10_clamp 1
		.amdhsa_ieee_mode 1
		.amdhsa_fp16_overflow 0
		.amdhsa_exception_fp_ieee_invalid_op 0
		.amdhsa_exception_fp_denorm_src 0
		.amdhsa_exception_fp_ieee_div_zero 0
		.amdhsa_exception_fp_ieee_overflow 0
		.amdhsa_exception_fp_ieee_underflow 0
		.amdhsa_exception_fp_ieee_inexact 0
		.amdhsa_exception_int_div_zero 0
	.end_amdhsa_kernel
	.section	.text._ZN2at6native12_GLOBAL__N_136upsample_linear1d_out_frame_backwardIddEEviT0_bN5torch10headeronly6detail27GenericPackedTensorAccessorINS6_14TensorAccessorIN3c108ArrayRefIlEET_Lm2ENS5_16DefaultPtrTraitsElEENS_6detail16IndexBoundsCheckILm3ElEESC_Lm3ESD_lEENS7_INS8_ISB_KSC_Lm2ESD_lEESH_SJ_Lm3ESD_lEE,"axG",@progbits,_ZN2at6native12_GLOBAL__N_136upsample_linear1d_out_frame_backwardIddEEviT0_bN5torch10headeronly6detail27GenericPackedTensorAccessorINS6_14TensorAccessorIN3c108ArrayRefIlEET_Lm2ENS5_16DefaultPtrTraitsElEENS_6detail16IndexBoundsCheckILm3ElEESC_Lm3ESD_lEENS7_INS8_ISB_KSC_Lm2ESD_lEESH_SJ_Lm3ESD_lEE,comdat
.Lfunc_end4:
	.size	_ZN2at6native12_GLOBAL__N_136upsample_linear1d_out_frame_backwardIddEEviT0_bN5torch10headeronly6detail27GenericPackedTensorAccessorINS6_14TensorAccessorIN3c108ArrayRefIlEET_Lm2ENS5_16DefaultPtrTraitsElEENS_6detail16IndexBoundsCheckILm3ElEESC_Lm3ESD_lEENS7_INS8_ISB_KSC_Lm2ESD_lEESH_SJ_Lm3ESD_lEE, .Lfunc_end4-_ZN2at6native12_GLOBAL__N_136upsample_linear1d_out_frame_backwardIddEEviT0_bN5torch10headeronly6detail27GenericPackedTensorAccessorINS6_14TensorAccessorIN3c108ArrayRefIlEET_Lm2ENS5_16DefaultPtrTraitsElEENS_6detail16IndexBoundsCheckILm3ElEESC_Lm3ESD_lEENS7_INS8_ISB_KSC_Lm2ESD_lEESH_SJ_Lm3ESD_lEE
                                        ; -- End function
	.set _ZN2at6native12_GLOBAL__N_136upsample_linear1d_out_frame_backwardIddEEviT0_bN5torch10headeronly6detail27GenericPackedTensorAccessorINS6_14TensorAccessorIN3c108ArrayRefIlEET_Lm2ENS5_16DefaultPtrTraitsElEENS_6detail16IndexBoundsCheckILm3ElEESC_Lm3ESD_lEENS7_INS8_ISB_KSC_Lm2ESD_lEESH_SJ_Lm3ESD_lEE.num_vgpr, 25
	.set _ZN2at6native12_GLOBAL__N_136upsample_linear1d_out_frame_backwardIddEEviT0_bN5torch10headeronly6detail27GenericPackedTensorAccessorINS6_14TensorAccessorIN3c108ArrayRefIlEET_Lm2ENS5_16DefaultPtrTraitsElEENS_6detail16IndexBoundsCheckILm3ElEESC_Lm3ESD_lEENS7_INS8_ISB_KSC_Lm2ESD_lEESH_SJ_Lm3ESD_lEE.num_agpr, 0
	.set _ZN2at6native12_GLOBAL__N_136upsample_linear1d_out_frame_backwardIddEEviT0_bN5torch10headeronly6detail27GenericPackedTensorAccessorINS6_14TensorAccessorIN3c108ArrayRefIlEET_Lm2ENS5_16DefaultPtrTraitsElEENS_6detail16IndexBoundsCheckILm3ElEESC_Lm3ESD_lEENS7_INS8_ISB_KSC_Lm2ESD_lEESH_SJ_Lm3ESD_lEE.numbered_sgpr, 28
	.set _ZN2at6native12_GLOBAL__N_136upsample_linear1d_out_frame_backwardIddEEviT0_bN5torch10headeronly6detail27GenericPackedTensorAccessorINS6_14TensorAccessorIN3c108ArrayRefIlEET_Lm2ENS5_16DefaultPtrTraitsElEENS_6detail16IndexBoundsCheckILm3ElEESC_Lm3ESD_lEENS7_INS8_ISB_KSC_Lm2ESD_lEESH_SJ_Lm3ESD_lEE.num_named_barrier, 0
	.set _ZN2at6native12_GLOBAL__N_136upsample_linear1d_out_frame_backwardIddEEviT0_bN5torch10headeronly6detail27GenericPackedTensorAccessorINS6_14TensorAccessorIN3c108ArrayRefIlEET_Lm2ENS5_16DefaultPtrTraitsElEENS_6detail16IndexBoundsCheckILm3ElEESC_Lm3ESD_lEENS7_INS8_ISB_KSC_Lm2ESD_lEESH_SJ_Lm3ESD_lEE.private_seg_size, 0
	.set _ZN2at6native12_GLOBAL__N_136upsample_linear1d_out_frame_backwardIddEEviT0_bN5torch10headeronly6detail27GenericPackedTensorAccessorINS6_14TensorAccessorIN3c108ArrayRefIlEET_Lm2ENS5_16DefaultPtrTraitsElEENS_6detail16IndexBoundsCheckILm3ElEESC_Lm3ESD_lEENS7_INS8_ISB_KSC_Lm2ESD_lEESH_SJ_Lm3ESD_lEE.uses_vcc, 1
	.set _ZN2at6native12_GLOBAL__N_136upsample_linear1d_out_frame_backwardIddEEviT0_bN5torch10headeronly6detail27GenericPackedTensorAccessorINS6_14TensorAccessorIN3c108ArrayRefIlEET_Lm2ENS5_16DefaultPtrTraitsElEENS_6detail16IndexBoundsCheckILm3ElEESC_Lm3ESD_lEENS7_INS8_ISB_KSC_Lm2ESD_lEESH_SJ_Lm3ESD_lEE.uses_flat_scratch, 0
	.set _ZN2at6native12_GLOBAL__N_136upsample_linear1d_out_frame_backwardIddEEviT0_bN5torch10headeronly6detail27GenericPackedTensorAccessorINS6_14TensorAccessorIN3c108ArrayRefIlEET_Lm2ENS5_16DefaultPtrTraitsElEENS_6detail16IndexBoundsCheckILm3ElEESC_Lm3ESD_lEENS7_INS8_ISB_KSC_Lm2ESD_lEESH_SJ_Lm3ESD_lEE.has_dyn_sized_stack, 0
	.set _ZN2at6native12_GLOBAL__N_136upsample_linear1d_out_frame_backwardIddEEviT0_bN5torch10headeronly6detail27GenericPackedTensorAccessorINS6_14TensorAccessorIN3c108ArrayRefIlEET_Lm2ENS5_16DefaultPtrTraitsElEENS_6detail16IndexBoundsCheckILm3ElEESC_Lm3ESD_lEENS7_INS8_ISB_KSC_Lm2ESD_lEESH_SJ_Lm3ESD_lEE.has_recursion, 0
	.set _ZN2at6native12_GLOBAL__N_136upsample_linear1d_out_frame_backwardIddEEviT0_bN5torch10headeronly6detail27GenericPackedTensorAccessorINS6_14TensorAccessorIN3c108ArrayRefIlEET_Lm2ENS5_16DefaultPtrTraitsElEENS_6detail16IndexBoundsCheckILm3ElEESC_Lm3ESD_lEENS7_INS8_ISB_KSC_Lm2ESD_lEESH_SJ_Lm3ESD_lEE.has_indirect_call, 0
	.section	.AMDGPU.csdata,"",@progbits
; Kernel info:
; codeLenInByte = 1220
; TotalNumSgprs: 32
; NumVgprs: 25
; ScratchSize: 0
; MemoryBound: 0
; FloatMode: 240
; IeeeMode: 1
; LDSByteSize: 0 bytes/workgroup (compile time only)
; SGPRBlocks: 3
; VGPRBlocks: 6
; NumSGPRsForWavesPerEU: 32
; NumVGPRsForWavesPerEU: 25
; Occupancy: 9
; WaveLimiterHint : 1
; COMPUTE_PGM_RSRC2:SCRATCH_EN: 0
; COMPUTE_PGM_RSRC2:USER_SGPR: 6
; COMPUTE_PGM_RSRC2:TRAP_HANDLER: 0
; COMPUTE_PGM_RSRC2:TGID_X_EN: 1
; COMPUTE_PGM_RSRC2:TGID_Y_EN: 0
; COMPUTE_PGM_RSRC2:TGID_Z_EN: 0
; COMPUTE_PGM_RSRC2:TIDIG_COMP_CNT: 0
	.section	.text._ZN2at6native12_GLOBAL__N_136upsample_linear1d_out_frame_backwardIffEEviT0_bN5torch10headeronly6detail27GenericPackedTensorAccessorINS6_14TensorAccessorIN3c108ArrayRefIlEET_Lm2ENS5_16DefaultPtrTraitsElEENS_6detail16IndexBoundsCheckILm3ElEESC_Lm3ESD_lEENS7_INS8_ISB_KSC_Lm2ESD_lEESH_SJ_Lm3ESD_lEE,"axG",@progbits,_ZN2at6native12_GLOBAL__N_136upsample_linear1d_out_frame_backwardIffEEviT0_bN5torch10headeronly6detail27GenericPackedTensorAccessorINS6_14TensorAccessorIN3c108ArrayRefIlEET_Lm2ENS5_16DefaultPtrTraitsElEENS_6detail16IndexBoundsCheckILm3ElEESC_Lm3ESD_lEENS7_INS8_ISB_KSC_Lm2ESD_lEESH_SJ_Lm3ESD_lEE,comdat
	.globl	_ZN2at6native12_GLOBAL__N_136upsample_linear1d_out_frame_backwardIffEEviT0_bN5torch10headeronly6detail27GenericPackedTensorAccessorINS6_14TensorAccessorIN3c108ArrayRefIlEET_Lm2ENS5_16DefaultPtrTraitsElEENS_6detail16IndexBoundsCheckILm3ElEESC_Lm3ESD_lEENS7_INS8_ISB_KSC_Lm2ESD_lEESH_SJ_Lm3ESD_lEE ; -- Begin function _ZN2at6native12_GLOBAL__N_136upsample_linear1d_out_frame_backwardIffEEviT0_bN5torch10headeronly6detail27GenericPackedTensorAccessorINS6_14TensorAccessorIN3c108ArrayRefIlEET_Lm2ENS5_16DefaultPtrTraitsElEENS_6detail16IndexBoundsCheckILm3ElEESC_Lm3ESD_lEENS7_INS8_ISB_KSC_Lm2ESD_lEESH_SJ_Lm3ESD_lEE
	.p2align	8
	.type	_ZN2at6native12_GLOBAL__N_136upsample_linear1d_out_frame_backwardIffEEviT0_bN5torch10headeronly6detail27GenericPackedTensorAccessorINS6_14TensorAccessorIN3c108ArrayRefIlEET_Lm2ENS5_16DefaultPtrTraitsElEENS_6detail16IndexBoundsCheckILm3ElEESC_Lm3ESD_lEENS7_INS8_ISB_KSC_Lm2ESD_lEESH_SJ_Lm3ESD_lEE,@function
_ZN2at6native12_GLOBAL__N_136upsample_linear1d_out_frame_backwardIffEEviT0_bN5torch10headeronly6detail27GenericPackedTensorAccessorINS6_14TensorAccessorIN3c108ArrayRefIlEET_Lm2ENS5_16DefaultPtrTraitsElEENS_6detail16IndexBoundsCheckILm3ElEESC_Lm3ESD_lEENS7_INS8_ISB_KSC_Lm2ESD_lEESH_SJ_Lm3ESD_lEE: ; @_ZN2at6native12_GLOBAL__N_136upsample_linear1d_out_frame_backwardIffEEviT0_bN5torch10headeronly6detail27GenericPackedTensorAccessorINS6_14TensorAccessorIN3c108ArrayRefIlEET_Lm2ENS5_16DefaultPtrTraitsElEENS_6detail16IndexBoundsCheckILm3ElEESC_Lm3ESD_lEENS7_INS8_ISB_KSC_Lm2ESD_lEESH_SJ_Lm3ESD_lEE
; %bb.0:
	s_load_dword s7, s[4:5], 0x8c
	s_load_dwordx4 s[0:3], s[4:5], 0x0
	s_waitcnt lgkmcnt(0)
	s_and_b32 s3, s7, 0xffff
	s_mul_i32 s6, s6, s3
	v_add_u32_e32 v0, s6, v0
	v_cmp_gt_i32_e32 vcc, s0, v0
	s_and_saveexec_b64 s[6:7], vcc
	s_cbranch_execz .LBB5_23
; %bb.1:
	s_load_dword s3, s[4:5], 0x60
	v_sub_u32_e32 v3, 0, v0
	v_max_i32_e32 v3, v0, v3
	v_ashrrev_i32_e32 v0, 31, v0
	s_load_dwordx4 s[16:19], s[4:5], 0x18
	s_waitcnt lgkmcnt(0)
	s_abs_i32 s6, s3
	v_cvt_f32_u32_e32 v1, s6
	s_sub_i32 s0, 0, s6
	v_rcp_iflag_f32_e32 v1, v1
	v_mul_f32_e32 v1, 0x4f7ffffe, v1
	v_cvt_u32_f32_e32 v1, v1
	v_mul_lo_u32 v2, s0, v1
	s_load_dword s0, s[4:5], 0x28
	v_mul_hi_u32 v2, v1, v2
	s_waitcnt lgkmcnt(0)
	s_cmp_lg_u32 s0, s3
	v_add_u32_e32 v1, v1, v2
	v_mul_hi_u32 v1, v3, v1
	v_mul_lo_u32 v1, v1, s6
	v_sub_u32_e32 v1, v3, v1
	v_subrev_u32_e32 v2, s6, v1
	v_cmp_le_u32_e32 vcc, s6, v1
	v_cndmask_b32_e32 v1, v1, v2, vcc
	v_subrev_u32_e32 v2, s6, v1
	v_cmp_le_u32_e32 vcc, s6, v1
	v_cndmask_b32_e32 v1, v1, v2, vcc
	v_xor_b32_e32 v1, v1, v0
	v_sub_u32_e32 v4, v1, v0
	s_mov_b64 s[6:7], -1
	s_cbranch_scc0 .LBB5_17
; %bb.2:
	v_cvt_f32_i32_e32 v1, v4
	s_bitcmp0_b32 s2, 0
	s_cbranch_scc0 .LBB5_4
; %bb.3:
	v_add_f32_e32 v0, 0.5, v1
	v_fma_f32 v0, s1, v0, -0.5
	v_cmp_ngt_f32_e32 vcc, 0, v0
	v_cndmask_b32_e32 v0, 0, v0, vcc
	s_cbranch_execz .LBB5_5
	s_branch .LBB5_6
.LBB5_4:
                                        ; implicit-def: $vgpr0
.LBB5_5:
	v_mul_f32_e32 v0, s1, v1
.LBB5_6:
	s_cmp_lt_i32 s16, 1
	s_cbranch_scc1 .LBB5_16
; %bb.7:
	v_cvt_i32_f32_e32 v9, v0
	s_add_i32 s19, s0, -1
	s_load_dwordx2 s[6:7], s[4:5], 0x78
	s_load_dwordx4 s[0:3], s[4:5], 0x68
	v_ashrrev_i32_e32 v2, 31, v4
	v_cvt_f32_i32_e32 v1, v9
	s_load_dwordx8 s[8:15], s[4:5], 0x30
	s_waitcnt lgkmcnt(0)
	v_mul_lo_u32 v3, s7, v4
	v_mul_lo_u32 v2, s6, v2
	v_sub_f32_e32 v5, v0, v1
	v_mad_u64_u32 v[0:1], s[6:7], s6, v4, 0
	v_mul_lo_u32 v10, s13, v9
	v_mov_b32_e32 v8, s15
	v_add3_u32 v1, v1, v2, v3
	v_ashrrev_i32_e32 v2, 31, v9
	v_lshlrev_b64 v[0:1], 2, v[0:1]
	v_mul_lo_u32 v11, s12, v2
	v_mad_u64_u32 v[2:3], s[22:23], s12, v9, 0
	v_add_co_u32_e32 v7, vcc, s14, v0
	v_addc_co_u32_e32 v8, vcc, v8, v1, vcc
	v_add3_u32 v3, v3, v11, v10
	v_cmp_gt_i32_e32 vcc, s19, v9
	v_lshlrev_b64 v[0:1], 2, v[2:3]
	v_addc_co_u32_e32 v2, vcc, 0, v9, vcc
	s_load_dwordx2 s[20:21], s[4:5], 0x10
	v_ashrrev_i32_e32 v3, 31, v2
	v_mul_lo_u32 v11, s12, v3
	v_mul_lo_u32 v13, s13, v2
	v_mad_u64_u32 v[2:3], s[12:13], s12, v2, 0
	s_waitcnt lgkmcnt(0)
	v_mov_b32_e32 v12, s21
	v_add_co_u32_e32 v9, vcc, s20, v0
	v_add3_u32 v3, v3, v11, v13
	v_addc_co_u32_e32 v10, vcc, v12, v1, vcc
	v_lshlrev_b64 v[0:1], 2, v[2:3]
	s_cmp_gt_i32 s18, 0
	v_add_co_u32_e32 v11, vcc, s20, v0
	s_mov_b32 s17, 0
	v_sub_f32_e32 v6, 1.0, v5
	s_cselect_b64 s[6:7], -1, 0
	v_addc_co_u32_e32 v12, vcc, v12, v1, vcc
	s_branch .LBB5_9
.LBB5_8:                                ;   in Loop: Header=BB5_9 Depth=1
	s_add_i32 s17, s17, 1
	s_cmp_eq_u32 s17, s16
	s_cbranch_scc1 .LBB5_16
.LBB5_9:                                ; =>This Loop Header: Depth=1
                                        ;     Child Loop BB5_11 Depth 2
                                        ;       Child Loop BB5_12 Depth 3
                                        ;       Child Loop BB5_14 Depth 3
	s_andn2_b64 vcc, exec, s[6:7]
	s_cbranch_vccnz .LBB5_8
; %bb.10:                               ;   in Loop: Header=BB5_9 Depth=1
	s_mul_i32 s12, s1, s17
	s_mul_hi_u32 s13, s0, s17
	s_add_i32 s13, s13, s12
	s_mul_i32 s12, s0, s17
	s_lshl_b64 s[12:13], s[12:13], 2
	v_mov_b32_e32 v0, s13
	v_add_co_u32_e32 v13, vcc, s12, v7
	s_mul_i32 s12, s9, s17
	s_mul_hi_u32 s13, s8, s17
	s_add_i32 s13, s13, s12
	s_mul_i32 s12, s8, s17
	v_addc_co_u32_e32 v14, vcc, v8, v0, vcc
	s_lshl_b64 s[12:13], s[12:13], 2
	v_mov_b32_e32 v0, s13
	v_add_co_u32_e32 v15, vcc, s12, v9
	v_addc_co_u32_e32 v16, vcc, v10, v0, vcc
	v_add_co_u32_e32 v17, vcc, s12, v11
	v_addc_co_u32_e32 v18, vcc, v12, v0, vcc
	s_mov_b32 s19, 0
.LBB5_11:                               ;   Parent Loop BB5_9 Depth=1
                                        ; =>  This Loop Header: Depth=2
                                        ;       Child Loop BB5_12 Depth 3
                                        ;       Child Loop BB5_14 Depth 3
	s_mul_i32 s12, s3, s19
	s_mul_hi_u32 s13, s2, s19
	s_add_i32 s13, s13, s12
	s_mul_i32 s12, s2, s19
	s_lshl_b64 s[12:13], s[12:13], 2
	v_mov_b32_e32 v1, s13
	v_add_co_u32_e32 v0, vcc, s12, v13
	s_mul_i32 s12, s11, s19
	s_mul_hi_u32 s13, s10, s19
	s_add_i32 s13, s13, s12
	s_mul_i32 s12, s10, s19
	v_addc_co_u32_e32 v1, vcc, v14, v1, vcc
	s_lshl_b64 s[12:13], s[12:13], 2
	global_load_dword v19, v[0:1], off
	v_mov_b32_e32 v1, s13
	v_add_co_u32_e32 v0, vcc, s12, v15
	v_addc_co_u32_e32 v1, vcc, v16, v1, vcc
	global_load_dword v3, v[0:1], off
	s_mov_b64 s[14:15], 0
	s_waitcnt vmcnt(1)
	v_mul_f32_e32 v20, v6, v19
.LBB5_12:                               ;   Parent Loop BB5_9 Depth=1
                                        ;     Parent Loop BB5_11 Depth=2
                                        ; =>    This Inner Loop Header: Depth=3
	s_waitcnt vmcnt(0)
	v_add_f32_e32 v2, v3, v20
	global_atomic_cmpswap v2, v[0:1], v[2:3], off glc
	s_waitcnt vmcnt(0)
	v_cmp_eq_u32_e32 vcc, v2, v3
	s_or_b64 s[14:15], vcc, s[14:15]
	v_mov_b32_e32 v3, v2
	s_andn2_b64 exec, exec, s[14:15]
	s_cbranch_execnz .LBB5_12
; %bb.13:                               ;   in Loop: Header=BB5_11 Depth=2
	s_or_b64 exec, exec, s[14:15]
	v_mov_b32_e32 v1, s13
	v_add_co_u32_e32 v0, vcc, s12, v17
	v_addc_co_u32_e32 v1, vcc, v18, v1, vcc
	global_load_dword v3, v[0:1], off
	v_mul_f32_e32 v19, v5, v19
	s_mov_b64 s[12:13], 0
.LBB5_14:                               ;   Parent Loop BB5_9 Depth=1
                                        ;     Parent Loop BB5_11 Depth=2
                                        ; =>    This Inner Loop Header: Depth=3
	s_waitcnt vmcnt(0)
	v_add_f32_e32 v2, v3, v19
	global_atomic_cmpswap v2, v[0:1], v[2:3], off glc
	s_waitcnt vmcnt(0)
	v_cmp_eq_u32_e32 vcc, v2, v3
	s_or_b64 s[12:13], vcc, s[12:13]
	v_mov_b32_e32 v3, v2
	s_andn2_b64 exec, exec, s[12:13]
	s_cbranch_execnz .LBB5_14
; %bb.15:                               ;   in Loop: Header=BB5_11 Depth=2
	s_or_b64 exec, exec, s[12:13]
	s_add_i32 s19, s19, 1
	s_cmp_eq_u32 s19, s18
	s_cbranch_scc0 .LBB5_11
	s_branch .LBB5_8
.LBB5_16:
	s_mov_b64 s[6:7], 0
.LBB5_17:
	s_and_b64 vcc, exec, s[6:7]
	s_cbranch_vccz .LBB5_23
; %bb.18:
	s_cmp_lt_i32 s16, 1
	s_cbranch_scc1 .LBB5_23
; %bb.19:
	s_load_dwordx2 s[0:1], s[4:5], 0x78
	s_load_dwordx4 s[12:15], s[4:5], 0x68
	v_ashrrev_i32_e32 v2, 31, v4
	s_load_dwordx8 s[20:27], s[4:5], 0x30
	s_load_dwordx2 s[2:3], s[4:5], 0x10
	s_waitcnt lgkmcnt(0)
	v_mul_lo_u32 v3, s1, v4
	v_mul_lo_u32 v5, s0, v2
	v_mad_u64_u32 v[0:1], s[0:1], s0, v4, 0
	v_mul_lo_u32 v6, s25, v4
	v_mul_lo_u32 v7, s24, v2
	v_add3_u32 v1, v1, v5, v3
	v_mad_u64_u32 v[2:3], s[4:5], s24, v4, 0
	v_lshlrev_b64 v[0:1], 2, v[0:1]
	v_mov_b32_e32 v5, s27
	v_add3_u32 v3, v3, v7, v6
	v_add_co_u32_e32 v0, vcc, s26, v0
	v_lshlrev_b64 v[2:3], 2, v[2:3]
	s_cmp_gt_i32 s18, 0
	v_addc_co_u32_e32 v1, vcc, v5, v1, vcc
	s_cselect_b64 s[0:1], -1, 0
	v_mov_b32_e32 v4, s3
	v_add_co_u32_e32 v2, vcc, s2, v2
	v_addc_co_u32_e32 v3, vcc, v4, v3, vcc
	v_cndmask_b32_e64 v4, 0, 1, s[0:1]
	s_mov_b32 s10, 0
	s_lshl_b64 s[2:3], s[20:21], 2
	s_lshl_b64 s[4:5], s[22:23], 2
	s_lshl_b64 s[6:7], s[12:13], 2
	s_lshl_b64 s[8:9], s[14:15], 2
	v_cmp_ne_u32_e64 s[0:1], 1, v4
	s_branch .LBB5_21
.LBB5_20:                               ;   in Loop: Header=BB5_21 Depth=1
	v_mov_b32_e32 v4, s3
	v_add_co_u32_e32 v2, vcc, s2, v2
	v_addc_co_u32_e32 v3, vcc, v3, v4, vcc
	s_add_i32 s10, s10, 1
	v_mov_b32_e32 v4, s7
	v_add_co_u32_e32 v0, vcc, s6, v0
	s_cmp_eq_u32 s10, s16
	v_addc_co_u32_e32 v1, vcc, v1, v4, vcc
	s_cbranch_scc1 .LBB5_23
.LBB5_21:                               ; =>This Loop Header: Depth=1
                                        ;     Child Loop BB5_22 Depth 2
	v_mov_b32_e32 v5, v1
	v_mov_b32_e32 v7, v3
	s_and_b64 vcc, exec, s[0:1]
	v_mov_b32_e32 v4, v0
	v_mov_b32_e32 v6, v2
	s_mov_b32 s11, s18
	s_cbranch_vccnz .LBB5_20
.LBB5_22:                               ;   Parent Loop BB5_21 Depth=1
                                        ; =>  This Inner Loop Header: Depth=2
	global_load_dword v8, v[4:5], off
	v_mov_b32_e32 v10, s9
	v_add_co_u32_e32 v4, vcc, s8, v4
	v_addc_co_u32_e32 v5, vcc, v5, v10, vcc
	s_add_i32 s11, s11, -1
	v_mov_b32_e32 v9, s5
	s_cmp_eq_u32 s11, 0
	s_waitcnt vmcnt(0)
	global_store_dword v[6:7], v8, off
	v_add_co_u32_e32 v6, vcc, s4, v6
	v_addc_co_u32_e32 v7, vcc, v7, v9, vcc
	s_cbranch_scc0 .LBB5_22
	s_branch .LBB5_20
.LBB5_23:
	s_endpgm
	.section	.rodata,"a",@progbits
	.p2align	6, 0x0
	.amdhsa_kernel _ZN2at6native12_GLOBAL__N_136upsample_linear1d_out_frame_backwardIffEEviT0_bN5torch10headeronly6detail27GenericPackedTensorAccessorINS6_14TensorAccessorIN3c108ArrayRefIlEET_Lm2ENS5_16DefaultPtrTraitsElEENS_6detail16IndexBoundsCheckILm3ElEESC_Lm3ESD_lEENS7_INS8_ISB_KSC_Lm2ESD_lEESH_SJ_Lm3ESD_lEE
		.amdhsa_group_segment_fixed_size 0
		.amdhsa_private_segment_fixed_size 0
		.amdhsa_kernarg_size 384
		.amdhsa_user_sgpr_count 6
		.amdhsa_user_sgpr_private_segment_buffer 1
		.amdhsa_user_sgpr_dispatch_ptr 0
		.amdhsa_user_sgpr_queue_ptr 0
		.amdhsa_user_sgpr_kernarg_segment_ptr 1
		.amdhsa_user_sgpr_dispatch_id 0
		.amdhsa_user_sgpr_flat_scratch_init 0
		.amdhsa_user_sgpr_private_segment_size 0
		.amdhsa_uses_dynamic_stack 0
		.amdhsa_system_sgpr_private_segment_wavefront_offset 0
		.amdhsa_system_sgpr_workgroup_id_x 1
		.amdhsa_system_sgpr_workgroup_id_y 0
		.amdhsa_system_sgpr_workgroup_id_z 0
		.amdhsa_system_sgpr_workgroup_info 0
		.amdhsa_system_vgpr_workitem_id 0
		.amdhsa_next_free_vgpr 21
		.amdhsa_next_free_sgpr 28
		.amdhsa_reserve_vcc 1
		.amdhsa_reserve_flat_scratch 0
		.amdhsa_float_round_mode_32 0
		.amdhsa_float_round_mode_16_64 0
		.amdhsa_float_denorm_mode_32 3
		.amdhsa_float_denorm_mode_16_64 3
		.amdhsa_dx10_clamp 1
		.amdhsa_ieee_mode 1
		.amdhsa_fp16_overflow 0
		.amdhsa_exception_fp_ieee_invalid_op 0
		.amdhsa_exception_fp_denorm_src 0
		.amdhsa_exception_fp_ieee_div_zero 0
		.amdhsa_exception_fp_ieee_overflow 0
		.amdhsa_exception_fp_ieee_underflow 0
		.amdhsa_exception_fp_ieee_inexact 0
		.amdhsa_exception_int_div_zero 0
	.end_amdhsa_kernel
	.section	.text._ZN2at6native12_GLOBAL__N_136upsample_linear1d_out_frame_backwardIffEEviT0_bN5torch10headeronly6detail27GenericPackedTensorAccessorINS6_14TensorAccessorIN3c108ArrayRefIlEET_Lm2ENS5_16DefaultPtrTraitsElEENS_6detail16IndexBoundsCheckILm3ElEESC_Lm3ESD_lEENS7_INS8_ISB_KSC_Lm2ESD_lEESH_SJ_Lm3ESD_lEE,"axG",@progbits,_ZN2at6native12_GLOBAL__N_136upsample_linear1d_out_frame_backwardIffEEviT0_bN5torch10headeronly6detail27GenericPackedTensorAccessorINS6_14TensorAccessorIN3c108ArrayRefIlEET_Lm2ENS5_16DefaultPtrTraitsElEENS_6detail16IndexBoundsCheckILm3ElEESC_Lm3ESD_lEENS7_INS8_ISB_KSC_Lm2ESD_lEESH_SJ_Lm3ESD_lEE,comdat
.Lfunc_end5:
	.size	_ZN2at6native12_GLOBAL__N_136upsample_linear1d_out_frame_backwardIffEEviT0_bN5torch10headeronly6detail27GenericPackedTensorAccessorINS6_14TensorAccessorIN3c108ArrayRefIlEET_Lm2ENS5_16DefaultPtrTraitsElEENS_6detail16IndexBoundsCheckILm3ElEESC_Lm3ESD_lEENS7_INS8_ISB_KSC_Lm2ESD_lEESH_SJ_Lm3ESD_lEE, .Lfunc_end5-_ZN2at6native12_GLOBAL__N_136upsample_linear1d_out_frame_backwardIffEEviT0_bN5torch10headeronly6detail27GenericPackedTensorAccessorINS6_14TensorAccessorIN3c108ArrayRefIlEET_Lm2ENS5_16DefaultPtrTraitsElEENS_6detail16IndexBoundsCheckILm3ElEESC_Lm3ESD_lEENS7_INS8_ISB_KSC_Lm2ESD_lEESH_SJ_Lm3ESD_lEE
                                        ; -- End function
	.set _ZN2at6native12_GLOBAL__N_136upsample_linear1d_out_frame_backwardIffEEviT0_bN5torch10headeronly6detail27GenericPackedTensorAccessorINS6_14TensorAccessorIN3c108ArrayRefIlEET_Lm2ENS5_16DefaultPtrTraitsElEENS_6detail16IndexBoundsCheckILm3ElEESC_Lm3ESD_lEENS7_INS8_ISB_KSC_Lm2ESD_lEESH_SJ_Lm3ESD_lEE.num_vgpr, 21
	.set _ZN2at6native12_GLOBAL__N_136upsample_linear1d_out_frame_backwardIffEEviT0_bN5torch10headeronly6detail27GenericPackedTensorAccessorINS6_14TensorAccessorIN3c108ArrayRefIlEET_Lm2ENS5_16DefaultPtrTraitsElEENS_6detail16IndexBoundsCheckILm3ElEESC_Lm3ESD_lEENS7_INS8_ISB_KSC_Lm2ESD_lEESH_SJ_Lm3ESD_lEE.num_agpr, 0
	.set _ZN2at6native12_GLOBAL__N_136upsample_linear1d_out_frame_backwardIffEEviT0_bN5torch10headeronly6detail27GenericPackedTensorAccessorINS6_14TensorAccessorIN3c108ArrayRefIlEET_Lm2ENS5_16DefaultPtrTraitsElEENS_6detail16IndexBoundsCheckILm3ElEESC_Lm3ESD_lEENS7_INS8_ISB_KSC_Lm2ESD_lEESH_SJ_Lm3ESD_lEE.numbered_sgpr, 28
	.set _ZN2at6native12_GLOBAL__N_136upsample_linear1d_out_frame_backwardIffEEviT0_bN5torch10headeronly6detail27GenericPackedTensorAccessorINS6_14TensorAccessorIN3c108ArrayRefIlEET_Lm2ENS5_16DefaultPtrTraitsElEENS_6detail16IndexBoundsCheckILm3ElEESC_Lm3ESD_lEENS7_INS8_ISB_KSC_Lm2ESD_lEESH_SJ_Lm3ESD_lEE.num_named_barrier, 0
	.set _ZN2at6native12_GLOBAL__N_136upsample_linear1d_out_frame_backwardIffEEviT0_bN5torch10headeronly6detail27GenericPackedTensorAccessorINS6_14TensorAccessorIN3c108ArrayRefIlEET_Lm2ENS5_16DefaultPtrTraitsElEENS_6detail16IndexBoundsCheckILm3ElEESC_Lm3ESD_lEENS7_INS8_ISB_KSC_Lm2ESD_lEESH_SJ_Lm3ESD_lEE.private_seg_size, 0
	.set _ZN2at6native12_GLOBAL__N_136upsample_linear1d_out_frame_backwardIffEEviT0_bN5torch10headeronly6detail27GenericPackedTensorAccessorINS6_14TensorAccessorIN3c108ArrayRefIlEET_Lm2ENS5_16DefaultPtrTraitsElEENS_6detail16IndexBoundsCheckILm3ElEESC_Lm3ESD_lEENS7_INS8_ISB_KSC_Lm2ESD_lEESH_SJ_Lm3ESD_lEE.uses_vcc, 1
	.set _ZN2at6native12_GLOBAL__N_136upsample_linear1d_out_frame_backwardIffEEviT0_bN5torch10headeronly6detail27GenericPackedTensorAccessorINS6_14TensorAccessorIN3c108ArrayRefIlEET_Lm2ENS5_16DefaultPtrTraitsElEENS_6detail16IndexBoundsCheckILm3ElEESC_Lm3ESD_lEENS7_INS8_ISB_KSC_Lm2ESD_lEESH_SJ_Lm3ESD_lEE.uses_flat_scratch, 0
	.set _ZN2at6native12_GLOBAL__N_136upsample_linear1d_out_frame_backwardIffEEviT0_bN5torch10headeronly6detail27GenericPackedTensorAccessorINS6_14TensorAccessorIN3c108ArrayRefIlEET_Lm2ENS5_16DefaultPtrTraitsElEENS_6detail16IndexBoundsCheckILm3ElEESC_Lm3ESD_lEENS7_INS8_ISB_KSC_Lm2ESD_lEESH_SJ_Lm3ESD_lEE.has_dyn_sized_stack, 0
	.set _ZN2at6native12_GLOBAL__N_136upsample_linear1d_out_frame_backwardIffEEviT0_bN5torch10headeronly6detail27GenericPackedTensorAccessorINS6_14TensorAccessorIN3c108ArrayRefIlEET_Lm2ENS5_16DefaultPtrTraitsElEENS_6detail16IndexBoundsCheckILm3ElEESC_Lm3ESD_lEENS7_INS8_ISB_KSC_Lm2ESD_lEESH_SJ_Lm3ESD_lEE.has_recursion, 0
	.set _ZN2at6native12_GLOBAL__N_136upsample_linear1d_out_frame_backwardIffEEviT0_bN5torch10headeronly6detail27GenericPackedTensorAccessorINS6_14TensorAccessorIN3c108ArrayRefIlEET_Lm2ENS5_16DefaultPtrTraitsElEENS_6detail16IndexBoundsCheckILm3ElEESC_Lm3ESD_lEENS7_INS8_ISB_KSC_Lm2ESD_lEESH_SJ_Lm3ESD_lEE.has_indirect_call, 0
	.section	.AMDGPU.csdata,"",@progbits
; Kernel info:
; codeLenInByte = 1164
; TotalNumSgprs: 32
; NumVgprs: 21
; ScratchSize: 0
; MemoryBound: 0
; FloatMode: 240
; IeeeMode: 1
; LDSByteSize: 0 bytes/workgroup (compile time only)
; SGPRBlocks: 3
; VGPRBlocks: 5
; NumSGPRsForWavesPerEU: 32
; NumVGPRsForWavesPerEU: 21
; Occupancy: 10
; WaveLimiterHint : 1
; COMPUTE_PGM_RSRC2:SCRATCH_EN: 0
; COMPUTE_PGM_RSRC2:USER_SGPR: 6
; COMPUTE_PGM_RSRC2:TRAP_HANDLER: 0
; COMPUTE_PGM_RSRC2:TGID_X_EN: 1
; COMPUTE_PGM_RSRC2:TGID_Y_EN: 0
; COMPUTE_PGM_RSRC2:TGID_Z_EN: 0
; COMPUTE_PGM_RSRC2:TIDIG_COMP_CNT: 0
	.section	.text._ZN2at6native12_GLOBAL__N_136upsample_linear1d_out_frame_backwardIN3c104HalfEfEEviT0_bN5torch10headeronly6detail27GenericPackedTensorAccessorINS8_14TensorAccessorINS3_8ArrayRefIlEET_Lm2ENS7_16DefaultPtrTraitsElEENS_6detail16IndexBoundsCheckILm3ElEESD_Lm3ESE_lEENS9_INSA_ISC_KSD_Lm2ESE_lEESI_SK_Lm3ESE_lEE,"axG",@progbits,_ZN2at6native12_GLOBAL__N_136upsample_linear1d_out_frame_backwardIN3c104HalfEfEEviT0_bN5torch10headeronly6detail27GenericPackedTensorAccessorINS8_14TensorAccessorINS3_8ArrayRefIlEET_Lm2ENS7_16DefaultPtrTraitsElEENS_6detail16IndexBoundsCheckILm3ElEESD_Lm3ESE_lEENS9_INSA_ISC_KSD_Lm2ESE_lEESI_SK_Lm3ESE_lEE,comdat
	.globl	_ZN2at6native12_GLOBAL__N_136upsample_linear1d_out_frame_backwardIN3c104HalfEfEEviT0_bN5torch10headeronly6detail27GenericPackedTensorAccessorINS8_14TensorAccessorINS3_8ArrayRefIlEET_Lm2ENS7_16DefaultPtrTraitsElEENS_6detail16IndexBoundsCheckILm3ElEESD_Lm3ESE_lEENS9_INSA_ISC_KSD_Lm2ESE_lEESI_SK_Lm3ESE_lEE ; -- Begin function _ZN2at6native12_GLOBAL__N_136upsample_linear1d_out_frame_backwardIN3c104HalfEfEEviT0_bN5torch10headeronly6detail27GenericPackedTensorAccessorINS8_14TensorAccessorINS3_8ArrayRefIlEET_Lm2ENS7_16DefaultPtrTraitsElEENS_6detail16IndexBoundsCheckILm3ElEESD_Lm3ESE_lEENS9_INSA_ISC_KSD_Lm2ESE_lEESI_SK_Lm3ESE_lEE
	.p2align	8
	.type	_ZN2at6native12_GLOBAL__N_136upsample_linear1d_out_frame_backwardIN3c104HalfEfEEviT0_bN5torch10headeronly6detail27GenericPackedTensorAccessorINS8_14TensorAccessorINS3_8ArrayRefIlEET_Lm2ENS7_16DefaultPtrTraitsElEENS_6detail16IndexBoundsCheckILm3ElEESD_Lm3ESE_lEENS9_INSA_ISC_KSD_Lm2ESE_lEESI_SK_Lm3ESE_lEE,@function
_ZN2at6native12_GLOBAL__N_136upsample_linear1d_out_frame_backwardIN3c104HalfEfEEviT0_bN5torch10headeronly6detail27GenericPackedTensorAccessorINS8_14TensorAccessorINS3_8ArrayRefIlEET_Lm2ENS7_16DefaultPtrTraitsElEENS_6detail16IndexBoundsCheckILm3ElEESD_Lm3ESE_lEENS9_INSA_ISC_KSD_Lm2ESE_lEESI_SK_Lm3ESE_lEE: ; @_ZN2at6native12_GLOBAL__N_136upsample_linear1d_out_frame_backwardIN3c104HalfEfEEviT0_bN5torch10headeronly6detail27GenericPackedTensorAccessorINS8_14TensorAccessorINS3_8ArrayRefIlEET_Lm2ENS7_16DefaultPtrTraitsElEENS_6detail16IndexBoundsCheckILm3ElEESD_Lm3ESE_lEENS9_INSA_ISC_KSD_Lm2ESE_lEESI_SK_Lm3ESE_lEE
; %bb.0:
	s_load_dword s7, s[4:5], 0x8c
	s_load_dwordx4 s[0:3], s[4:5], 0x0
	s_waitcnt lgkmcnt(0)
	s_and_b32 s3, s7, 0xffff
	s_mul_i32 s6, s6, s3
	v_add_u32_e32 v0, s6, v0
	v_cmp_gt_i32_e32 vcc, s0, v0
	s_and_saveexec_b64 s[6:7], vcc
	s_cbranch_execz .LBB6_31
; %bb.1:
	s_load_dword s3, s[4:5], 0x60
	v_sub_u32_e32 v3, 0, v0
	v_max_i32_e32 v3, v0, v3
	v_ashrrev_i32_e32 v0, 31, v0
	s_load_dwordx4 s[16:19], s[4:5], 0x18
	s_waitcnt lgkmcnt(0)
	s_abs_i32 s6, s3
	v_cvt_f32_u32_e32 v1, s6
	s_sub_i32 s0, 0, s6
	v_rcp_iflag_f32_e32 v1, v1
	v_mul_f32_e32 v1, 0x4f7ffffe, v1
	v_cvt_u32_f32_e32 v1, v1
	v_mul_lo_u32 v2, s0, v1
	s_load_dword s0, s[4:5], 0x28
	v_mul_hi_u32 v2, v1, v2
	s_waitcnt lgkmcnt(0)
	s_cmp_lg_u32 s0, s3
	v_add_u32_e32 v1, v1, v2
	v_mul_hi_u32 v1, v3, v1
	v_mul_lo_u32 v1, v1, s6
	v_sub_u32_e32 v1, v3, v1
	v_subrev_u32_e32 v2, s6, v1
	v_cmp_le_u32_e32 vcc, s6, v1
	v_cndmask_b32_e32 v1, v1, v2, vcc
	v_subrev_u32_e32 v2, s6, v1
	v_cmp_le_u32_e32 vcc, s6, v1
	v_cndmask_b32_e32 v1, v1, v2, vcc
	v_xor_b32_e32 v1, v1, v0
	v_sub_u32_e32 v6, v1, v0
	s_mov_b64 s[6:7], -1
	s_cbranch_scc0 .LBB6_25
; %bb.2:
	v_cvt_f32_i32_e32 v1, v6
	s_bitcmp0_b32 s2, 0
	s_cbranch_scc0 .LBB6_4
; %bb.3:
	v_add_f32_e32 v0, 0.5, v1
	v_fma_f32 v0, s1, v0, -0.5
	v_cmp_ngt_f32_e32 vcc, 0, v0
	v_cndmask_b32_e32 v0, 0, v0, vcc
	s_cbranch_execz .LBB6_5
	s_branch .LBB6_6
.LBB6_4:
                                        ; implicit-def: $vgpr0
.LBB6_5:
	v_mul_f32_e32 v0, s1, v1
.LBB6_6:
	s_cmp_lt_i32 s16, 1
	s_cbranch_scc1 .LBB6_24
; %bb.7:
	v_cvt_i32_f32_e32 v4, v0
	s_add_i32 s19, s0, -1
	s_load_dwordx2 s[0:1], s[4:5], 0x78
	s_load_dwordx4 s[20:23], s[4:5], 0x68
	v_ashrrev_i32_e32 v2, 31, v6
	v_cvt_f32_i32_e32 v1, v4
	s_load_dwordx8 s[8:15], s[4:5], 0x30
	s_waitcnt lgkmcnt(0)
	v_mul_lo_u32 v3, s1, v6
	v_mul_lo_u32 v2, s0, v2
	v_sub_f32_e32 v7, v0, v1
	v_mad_u64_u32 v[0:1], s[0:1], s0, v6, 0
	v_mul_lo_u32 v11, s13, v4
	v_mov_b32_e32 v5, s15
	v_add3_u32 v1, v1, v2, v3
	v_ashrrev_i32_e32 v2, 31, v4
	v_lshlrev_b64 v[0:1], 1, v[0:1]
	v_mul_lo_u32 v12, s12, v2
	v_mad_u64_u32 v[2:3], s[2:3], s12, v4, 0
	v_add_co_u32_e32 v9, vcc, s14, v0
	v_addc_co_u32_e32 v10, vcc, v5, v1, vcc
	v_add3_u32 v3, v3, v12, v11
	v_cmp_gt_i32_e32 vcc, s19, v4
	v_lshlrev_b64 v[0:1], 1, v[2:3]
	v_addc_co_u32_e32 v2, vcc, 0, v4, vcc
	s_load_dwordx2 s[0:1], s[4:5], 0x10
	v_ashrrev_i32_e32 v3, 31, v2
	v_mul_lo_u32 v4, s12, v3
	v_mul_lo_u32 v13, s13, v2
	v_mad_u64_u32 v[2:3], s[2:3], s12, v2, 0
	s_waitcnt lgkmcnt(0)
	v_mov_b32_e32 v5, s1
	v_add_co_u32_e32 v11, vcc, s0, v0
	v_add3_u32 v3, v3, v4, v13
	v_addc_co_u32_e32 v12, vcc, v5, v1, vcc
	v_lshlrev_b64 v[0:1], 1, v[2:3]
	s_cmp_gt_i32 s18, 0
	v_add_co_u32_e32 v13, vcc, s0, v0
	s_mov_b32 s17, 0
	v_sub_f32_e32 v8, 1.0, v7
	s_cselect_b64 s[6:7], -1, 0
	v_addc_co_u32_e32 v14, vcc, v5, v1, vcc
	v_mov_b32_e32 v1, 0
	s_mov_b32 s19, 0xffff0000
	s_branch .LBB6_9
.LBB6_8:                                ;   in Loop: Header=BB6_9 Depth=1
	s_add_i32 s17, s17, 1
	s_cmp_eq_u32 s17, s16
	s_cbranch_scc1 .LBB6_24
.LBB6_9:                                ; =>This Loop Header: Depth=1
                                        ;     Child Loop BB6_12 Depth 2
                                        ;       Child Loop BB6_14 Depth 3
                                        ;       Child Loop BB6_20 Depth 3
	s_andn2_b64 vcc, exec, s[6:7]
	s_cbranch_vccnz .LBB6_8
; %bb.10:                               ;   in Loop: Header=BB6_9 Depth=1
	s_mul_i32 s0, s21, s17
	s_mul_hi_u32 s1, s20, s17
	s_add_i32 s1, s1, s0
	s_mul_i32 s0, s20, s17
	s_lshl_b64 s[0:1], s[0:1], 1
	v_mov_b32_e32 v0, s1
	v_add_co_u32_e32 v15, vcc, s0, v9
	s_mul_i32 s0, s9, s17
	s_mul_hi_u32 s1, s8, s17
	s_add_i32 s1, s1, s0
	s_mul_i32 s0, s8, s17
	v_addc_co_u32_e32 v16, vcc, v10, v0, vcc
	s_lshl_b64 s[0:1], s[0:1], 1
	v_mov_b32_e32 v0, s1
	v_add_co_u32_e32 v17, vcc, s0, v11
	v_addc_co_u32_e32 v18, vcc, v12, v0, vcc
	v_add_co_u32_e32 v19, vcc, s0, v13
	v_addc_co_u32_e32 v20, vcc, v14, v0, vcc
	s_mov_b32 s24, 0
	s_branch .LBB6_12
.LBB6_11:                               ;   in Loop: Header=BB6_12 Depth=2
	s_or_b64 exec, exec, s[12:13]
	s_add_i32 s24, s24, 1
	s_cmp_eq_u32 s24, s18
	s_cbranch_scc1 .LBB6_8
.LBB6_12:                               ;   Parent Loop BB6_9 Depth=1
                                        ; =>  This Loop Header: Depth=2
                                        ;       Child Loop BB6_14 Depth 3
                                        ;       Child Loop BB6_20 Depth 3
	s_mul_i32 s0, s23, s24
	s_mul_hi_u32 s1, s22, s24
	s_add_i32 s1, s1, s0
	s_mul_i32 s0, s22, s24
	s_lshl_b64 s[0:1], s[0:1], 1
	v_mov_b32_e32 v0, s1
	v_add_co_u32_e32 v2, vcc, s0, v15
	s_mul_i32 s0, s11, s24
	s_mul_hi_u32 s1, s10, s24
	s_add_i32 s1, s1, s0
	s_mul_i32 s0, s10, s24
	v_addc_co_u32_e32 v3, vcc, v16, v0, vcc
	s_lshl_b64 s[12:13], s[0:1], 1
	global_load_ushort v4, v[2:3], off
	v_mov_b32_e32 v0, s13
	v_add_co_u32_e32 v2, vcc, s12, v17
	v_addc_co_u32_e32 v3, vcc, v18, v0, vcc
	v_and_b32_e32 v0, 2, v2
	v_sub_co_u32_e32 v5, vcc, 0, v0
	v_subb_co_u32_e64 v21, s[0:1], 0, 0, vcc
	v_add_co_u32_e32 v2, vcc, v2, v5
	v_addc_co_u32_e32 v3, vcc, v3, v21, vcc
	global_load_dword v5, v[2:3], off
	v_cmp_eq_u64_e32 vcc, 0, v[0:1]
	s_mov_b64 s[14:15], 0
	v_cmp_ne_u32_e64 s[0:1], 0, v0
	s_waitcnt vmcnt(1)
	v_cvt_f32_f16_e32 v21, v4
	v_fma_mixlo_f16 v22, v8, v4, 0 op_sel_hi:[0,1,0]
	s_branch .LBB6_14
.LBB6_13:                               ;   in Loop: Header=BB6_14 Depth=3
	s_or_b64 exec, exec, s[2:3]
	global_atomic_cmpswap v0, v[2:3], v[4:5], off glc
	s_waitcnt vmcnt(0)
	v_cmp_eq_u32_e64 s[2:3], v5, v0
	s_or_b64 s[14:15], s[2:3], s[14:15]
	v_mov_b32_e32 v5, v0
	s_andn2_b64 exec, exec, s[14:15]
	s_cbranch_execz .LBB6_18
.LBB6_14:                               ;   Parent Loop BB6_9 Depth=1
                                        ;     Parent Loop BB6_12 Depth=2
                                        ; =>    This Inner Loop Header: Depth=3
	s_waitcnt vmcnt(0)
	v_cndmask_b32_sdwa v0, v5, v5, vcc dst_sel:DWORD dst_unused:UNUSED_PAD src0_sel:WORD_1 src1_sel:DWORD
	v_add_f16_e32 v0, v22, v0
	s_and_saveexec_b64 s[2:3], s[0:1]
	s_xor_b64 s[2:3], exec, s[2:3]
; %bb.15:                               ;   in Loop: Header=BB6_14 Depth=3
	v_and_b32_e32 v4, 0xffff, v5
	v_lshl_or_b32 v4, v0, 16, v4
                                        ; implicit-def: $vgpr0
; %bb.16:                               ;   in Loop: Header=BB6_14 Depth=3
	s_andn2_saveexec_b64 s[2:3], s[2:3]
	s_cbranch_execz .LBB6_13
; %bb.17:                               ;   in Loop: Header=BB6_14 Depth=3
	v_and_or_b32 v4, v5, s19, v0
	s_branch .LBB6_13
.LBB6_18:                               ;   in Loop: Header=BB6_12 Depth=2
	s_or_b64 exec, exec, s[14:15]
	v_mov_b32_e32 v0, s13
	v_add_co_u32_e32 v2, vcc, s12, v19
	v_addc_co_u32_e32 v3, vcc, v20, v0, vcc
	v_and_b32_e32 v0, 2, v2
	v_sub_co_u32_e32 v4, vcc, 0, v0
	v_subb_co_u32_e64 v5, s[0:1], 0, 0, vcc
	v_add_co_u32_e32 v2, vcc, v2, v4
	v_addc_co_u32_e32 v3, vcc, v3, v5, vcc
	global_load_dword v5, v[2:3], off
	v_cmp_eq_u64_e32 vcc, 0, v[0:1]
	v_fma_mixlo_f16 v21, v7, v21, 0
	s_mov_b64 s[12:13], 0
	v_cmp_ne_u32_e64 s[0:1], 0, v0
	s_branch .LBB6_20
.LBB6_19:                               ;   in Loop: Header=BB6_20 Depth=3
	s_or_b64 exec, exec, s[2:3]
	global_atomic_cmpswap v0, v[2:3], v[4:5], off glc
	s_waitcnt vmcnt(0)
	v_cmp_eq_u32_e64 s[2:3], v5, v0
	s_or_b64 s[12:13], s[2:3], s[12:13]
	v_mov_b32_e32 v5, v0
	s_andn2_b64 exec, exec, s[12:13]
	s_cbranch_execz .LBB6_11
.LBB6_20:                               ;   Parent Loop BB6_9 Depth=1
                                        ;     Parent Loop BB6_12 Depth=2
                                        ; =>    This Inner Loop Header: Depth=3
	s_waitcnt vmcnt(0)
	v_cndmask_b32_sdwa v0, v5, v5, vcc dst_sel:DWORD dst_unused:UNUSED_PAD src0_sel:WORD_1 src1_sel:DWORD
	v_add_f16_e32 v0, v21, v0
	s_and_saveexec_b64 s[2:3], s[0:1]
	s_xor_b64 s[2:3], exec, s[2:3]
; %bb.21:                               ;   in Loop: Header=BB6_20 Depth=3
	v_and_b32_e32 v4, 0xffff, v5
	v_lshl_or_b32 v4, v0, 16, v4
                                        ; implicit-def: $vgpr0
; %bb.22:                               ;   in Loop: Header=BB6_20 Depth=3
	s_andn2_saveexec_b64 s[2:3], s[2:3]
	s_cbranch_execz .LBB6_19
; %bb.23:                               ;   in Loop: Header=BB6_20 Depth=3
	v_and_or_b32 v4, v5, s19, v0
	s_branch .LBB6_19
.LBB6_24:
	s_mov_b64 s[6:7], 0
.LBB6_25:
	s_and_b64 vcc, exec, s[6:7]
	s_cbranch_vccz .LBB6_31
; %bb.26:
	s_cmp_lt_i32 s16, 1
	s_cbranch_scc1 .LBB6_31
; %bb.27:
	s_load_dwordx2 s[0:1], s[4:5], 0x78
	s_load_dwordx4 s[12:15], s[4:5], 0x68
	v_ashrrev_i32_e32 v2, 31, v6
	s_load_dwordx8 s[20:27], s[4:5], 0x30
	s_load_dwordx2 s[2:3], s[4:5], 0x10
	s_waitcnt lgkmcnt(0)
	v_mul_lo_u32 v3, s1, v6
	v_mul_lo_u32 v4, s0, v2
	v_mad_u64_u32 v[0:1], s[0:1], s0, v6, 0
	v_mul_lo_u32 v5, s25, v6
	v_mul_lo_u32 v7, s24, v2
	v_add3_u32 v1, v1, v4, v3
	v_mad_u64_u32 v[2:3], s[4:5], s24, v6, 0
	v_lshlrev_b64 v[0:1], 1, v[0:1]
	v_mov_b32_e32 v4, s27
	v_add3_u32 v3, v3, v7, v5
	v_add_co_u32_e32 v0, vcc, s26, v0
	v_lshlrev_b64 v[2:3], 1, v[2:3]
	s_cmp_gt_i32 s18, 0
	v_addc_co_u32_e32 v1, vcc, v4, v1, vcc
	s_cselect_b64 s[0:1], -1, 0
	v_mov_b32_e32 v4, s3
	v_add_co_u32_e32 v2, vcc, s2, v2
	v_addc_co_u32_e32 v3, vcc, v4, v3, vcc
	v_cndmask_b32_e64 v4, 0, 1, s[0:1]
	s_mov_b32 s10, 0
	s_lshl_b64 s[2:3], s[20:21], 1
	s_lshl_b64 s[4:5], s[22:23], 1
	;; [unrolled: 1-line block ×4, first 2 shown]
	v_cmp_ne_u32_e64 s[0:1], 1, v4
	s_branch .LBB6_29
.LBB6_28:                               ;   in Loop: Header=BB6_29 Depth=1
	v_mov_b32_e32 v4, s3
	v_add_co_u32_e32 v2, vcc, s2, v2
	v_addc_co_u32_e32 v3, vcc, v3, v4, vcc
	s_add_i32 s10, s10, 1
	v_mov_b32_e32 v4, s7
	v_add_co_u32_e32 v0, vcc, s6, v0
	s_cmp_eq_u32 s10, s16
	v_addc_co_u32_e32 v1, vcc, v1, v4, vcc
	s_cbranch_scc1 .LBB6_31
.LBB6_29:                               ; =>This Loop Header: Depth=1
                                        ;     Child Loop BB6_30 Depth 2
	v_mov_b32_e32 v5, v1
	v_mov_b32_e32 v7, v3
	s_and_b64 vcc, exec, s[0:1]
	v_mov_b32_e32 v4, v0
	v_mov_b32_e32 v6, v2
	s_mov_b32 s11, s18
	s_cbranch_vccnz .LBB6_28
.LBB6_30:                               ;   Parent Loop BB6_29 Depth=1
                                        ; =>  This Inner Loop Header: Depth=2
	global_load_ushort v8, v[4:5], off
	v_mov_b32_e32 v10, s9
	v_add_co_u32_e32 v4, vcc, s8, v4
	v_addc_co_u32_e32 v5, vcc, v5, v10, vcc
	s_add_i32 s11, s11, -1
	v_mov_b32_e32 v9, s5
	s_cmp_eq_u32 s11, 0
	s_waitcnt vmcnt(0)
	global_store_short v[6:7], v8, off
	v_add_co_u32_e32 v6, vcc, s4, v6
	v_addc_co_u32_e32 v7, vcc, v7, v9, vcc
	s_cbranch_scc0 .LBB6_30
	s_branch .LBB6_28
.LBB6_31:
	s_endpgm
	.section	.rodata,"a",@progbits
	.p2align	6, 0x0
	.amdhsa_kernel _ZN2at6native12_GLOBAL__N_136upsample_linear1d_out_frame_backwardIN3c104HalfEfEEviT0_bN5torch10headeronly6detail27GenericPackedTensorAccessorINS8_14TensorAccessorINS3_8ArrayRefIlEET_Lm2ENS7_16DefaultPtrTraitsElEENS_6detail16IndexBoundsCheckILm3ElEESD_Lm3ESE_lEENS9_INSA_ISC_KSD_Lm2ESE_lEESI_SK_Lm3ESE_lEE
		.amdhsa_group_segment_fixed_size 0
		.amdhsa_private_segment_fixed_size 0
		.amdhsa_kernarg_size 384
		.amdhsa_user_sgpr_count 6
		.amdhsa_user_sgpr_private_segment_buffer 1
		.amdhsa_user_sgpr_dispatch_ptr 0
		.amdhsa_user_sgpr_queue_ptr 0
		.amdhsa_user_sgpr_kernarg_segment_ptr 1
		.amdhsa_user_sgpr_dispatch_id 0
		.amdhsa_user_sgpr_flat_scratch_init 0
		.amdhsa_user_sgpr_private_segment_size 0
		.amdhsa_uses_dynamic_stack 0
		.amdhsa_system_sgpr_private_segment_wavefront_offset 0
		.amdhsa_system_sgpr_workgroup_id_x 1
		.amdhsa_system_sgpr_workgroup_id_y 0
		.amdhsa_system_sgpr_workgroup_id_z 0
		.amdhsa_system_sgpr_workgroup_info 0
		.amdhsa_system_vgpr_workitem_id 0
		.amdhsa_next_free_vgpr 23
		.amdhsa_next_free_sgpr 28
		.amdhsa_reserve_vcc 1
		.amdhsa_reserve_flat_scratch 0
		.amdhsa_float_round_mode_32 0
		.amdhsa_float_round_mode_16_64 0
		.amdhsa_float_denorm_mode_32 3
		.amdhsa_float_denorm_mode_16_64 3
		.amdhsa_dx10_clamp 1
		.amdhsa_ieee_mode 1
		.amdhsa_fp16_overflow 0
		.amdhsa_exception_fp_ieee_invalid_op 0
		.amdhsa_exception_fp_denorm_src 0
		.amdhsa_exception_fp_ieee_div_zero 0
		.amdhsa_exception_fp_ieee_overflow 0
		.amdhsa_exception_fp_ieee_underflow 0
		.amdhsa_exception_fp_ieee_inexact 0
		.amdhsa_exception_int_div_zero 0
	.end_amdhsa_kernel
	.section	.text._ZN2at6native12_GLOBAL__N_136upsample_linear1d_out_frame_backwardIN3c104HalfEfEEviT0_bN5torch10headeronly6detail27GenericPackedTensorAccessorINS8_14TensorAccessorINS3_8ArrayRefIlEET_Lm2ENS7_16DefaultPtrTraitsElEENS_6detail16IndexBoundsCheckILm3ElEESD_Lm3ESE_lEENS9_INSA_ISC_KSD_Lm2ESE_lEESI_SK_Lm3ESE_lEE,"axG",@progbits,_ZN2at6native12_GLOBAL__N_136upsample_linear1d_out_frame_backwardIN3c104HalfEfEEviT0_bN5torch10headeronly6detail27GenericPackedTensorAccessorINS8_14TensorAccessorINS3_8ArrayRefIlEET_Lm2ENS7_16DefaultPtrTraitsElEENS_6detail16IndexBoundsCheckILm3ElEESD_Lm3ESE_lEENS9_INSA_ISC_KSD_Lm2ESE_lEESI_SK_Lm3ESE_lEE,comdat
.Lfunc_end6:
	.size	_ZN2at6native12_GLOBAL__N_136upsample_linear1d_out_frame_backwardIN3c104HalfEfEEviT0_bN5torch10headeronly6detail27GenericPackedTensorAccessorINS8_14TensorAccessorINS3_8ArrayRefIlEET_Lm2ENS7_16DefaultPtrTraitsElEENS_6detail16IndexBoundsCheckILm3ElEESD_Lm3ESE_lEENS9_INSA_ISC_KSD_Lm2ESE_lEESI_SK_Lm3ESE_lEE, .Lfunc_end6-_ZN2at6native12_GLOBAL__N_136upsample_linear1d_out_frame_backwardIN3c104HalfEfEEviT0_bN5torch10headeronly6detail27GenericPackedTensorAccessorINS8_14TensorAccessorINS3_8ArrayRefIlEET_Lm2ENS7_16DefaultPtrTraitsElEENS_6detail16IndexBoundsCheckILm3ElEESD_Lm3ESE_lEENS9_INSA_ISC_KSD_Lm2ESE_lEESI_SK_Lm3ESE_lEE
                                        ; -- End function
	.set _ZN2at6native12_GLOBAL__N_136upsample_linear1d_out_frame_backwardIN3c104HalfEfEEviT0_bN5torch10headeronly6detail27GenericPackedTensorAccessorINS8_14TensorAccessorINS3_8ArrayRefIlEET_Lm2ENS7_16DefaultPtrTraitsElEENS_6detail16IndexBoundsCheckILm3ElEESD_Lm3ESE_lEENS9_INSA_ISC_KSD_Lm2ESE_lEESI_SK_Lm3ESE_lEE.num_vgpr, 23
	.set _ZN2at6native12_GLOBAL__N_136upsample_linear1d_out_frame_backwardIN3c104HalfEfEEviT0_bN5torch10headeronly6detail27GenericPackedTensorAccessorINS8_14TensorAccessorINS3_8ArrayRefIlEET_Lm2ENS7_16DefaultPtrTraitsElEENS_6detail16IndexBoundsCheckILm3ElEESD_Lm3ESE_lEENS9_INSA_ISC_KSD_Lm2ESE_lEESI_SK_Lm3ESE_lEE.num_agpr, 0
	.set _ZN2at6native12_GLOBAL__N_136upsample_linear1d_out_frame_backwardIN3c104HalfEfEEviT0_bN5torch10headeronly6detail27GenericPackedTensorAccessorINS8_14TensorAccessorINS3_8ArrayRefIlEET_Lm2ENS7_16DefaultPtrTraitsElEENS_6detail16IndexBoundsCheckILm3ElEESD_Lm3ESE_lEENS9_INSA_ISC_KSD_Lm2ESE_lEESI_SK_Lm3ESE_lEE.numbered_sgpr, 28
	.set _ZN2at6native12_GLOBAL__N_136upsample_linear1d_out_frame_backwardIN3c104HalfEfEEviT0_bN5torch10headeronly6detail27GenericPackedTensorAccessorINS8_14TensorAccessorINS3_8ArrayRefIlEET_Lm2ENS7_16DefaultPtrTraitsElEENS_6detail16IndexBoundsCheckILm3ElEESD_Lm3ESE_lEENS9_INSA_ISC_KSD_Lm2ESE_lEESI_SK_Lm3ESE_lEE.num_named_barrier, 0
	.set _ZN2at6native12_GLOBAL__N_136upsample_linear1d_out_frame_backwardIN3c104HalfEfEEviT0_bN5torch10headeronly6detail27GenericPackedTensorAccessorINS8_14TensorAccessorINS3_8ArrayRefIlEET_Lm2ENS7_16DefaultPtrTraitsElEENS_6detail16IndexBoundsCheckILm3ElEESD_Lm3ESE_lEENS9_INSA_ISC_KSD_Lm2ESE_lEESI_SK_Lm3ESE_lEE.private_seg_size, 0
	.set _ZN2at6native12_GLOBAL__N_136upsample_linear1d_out_frame_backwardIN3c104HalfEfEEviT0_bN5torch10headeronly6detail27GenericPackedTensorAccessorINS8_14TensorAccessorINS3_8ArrayRefIlEET_Lm2ENS7_16DefaultPtrTraitsElEENS_6detail16IndexBoundsCheckILm3ElEESD_Lm3ESE_lEENS9_INSA_ISC_KSD_Lm2ESE_lEESI_SK_Lm3ESE_lEE.uses_vcc, 1
	.set _ZN2at6native12_GLOBAL__N_136upsample_linear1d_out_frame_backwardIN3c104HalfEfEEviT0_bN5torch10headeronly6detail27GenericPackedTensorAccessorINS8_14TensorAccessorINS3_8ArrayRefIlEET_Lm2ENS7_16DefaultPtrTraitsElEENS_6detail16IndexBoundsCheckILm3ElEESD_Lm3ESE_lEENS9_INSA_ISC_KSD_Lm2ESE_lEESI_SK_Lm3ESE_lEE.uses_flat_scratch, 0
	.set _ZN2at6native12_GLOBAL__N_136upsample_linear1d_out_frame_backwardIN3c104HalfEfEEviT0_bN5torch10headeronly6detail27GenericPackedTensorAccessorINS8_14TensorAccessorINS3_8ArrayRefIlEET_Lm2ENS7_16DefaultPtrTraitsElEENS_6detail16IndexBoundsCheckILm3ElEESD_Lm3ESE_lEENS9_INSA_ISC_KSD_Lm2ESE_lEESI_SK_Lm3ESE_lEE.has_dyn_sized_stack, 0
	.set _ZN2at6native12_GLOBAL__N_136upsample_linear1d_out_frame_backwardIN3c104HalfEfEEviT0_bN5torch10headeronly6detail27GenericPackedTensorAccessorINS8_14TensorAccessorINS3_8ArrayRefIlEET_Lm2ENS7_16DefaultPtrTraitsElEENS_6detail16IndexBoundsCheckILm3ElEESD_Lm3ESE_lEENS9_INSA_ISC_KSD_Lm2ESE_lEESI_SK_Lm3ESE_lEE.has_recursion, 0
	.set _ZN2at6native12_GLOBAL__N_136upsample_linear1d_out_frame_backwardIN3c104HalfEfEEviT0_bN5torch10headeronly6detail27GenericPackedTensorAccessorINS8_14TensorAccessorINS3_8ArrayRefIlEET_Lm2ENS7_16DefaultPtrTraitsElEENS_6detail16IndexBoundsCheckILm3ElEESD_Lm3ESE_lEENS9_INSA_ISC_KSD_Lm2ESE_lEESI_SK_Lm3ESE_lEE.has_indirect_call, 0
	.section	.AMDGPU.csdata,"",@progbits
; Kernel info:
; codeLenInByte = 1388
; TotalNumSgprs: 32
; NumVgprs: 23
; ScratchSize: 0
; MemoryBound: 0
; FloatMode: 240
; IeeeMode: 1
; LDSByteSize: 0 bytes/workgroup (compile time only)
; SGPRBlocks: 3
; VGPRBlocks: 5
; NumSGPRsForWavesPerEU: 32
; NumVGPRsForWavesPerEU: 23
; Occupancy: 10
; WaveLimiterHint : 1
; COMPUTE_PGM_RSRC2:SCRATCH_EN: 0
; COMPUTE_PGM_RSRC2:USER_SGPR: 6
; COMPUTE_PGM_RSRC2:TRAP_HANDLER: 0
; COMPUTE_PGM_RSRC2:TGID_X_EN: 1
; COMPUTE_PGM_RSRC2:TGID_Y_EN: 0
; COMPUTE_PGM_RSRC2:TGID_Z_EN: 0
; COMPUTE_PGM_RSRC2:TIDIG_COMP_CNT: 0
	.section	.text._ZN2at6native12_GLOBAL__N_136upsample_linear1d_out_frame_backwardIN3c108BFloat16EfEEviT0_bN5torch10headeronly6detail27GenericPackedTensorAccessorINS8_14TensorAccessorINS3_8ArrayRefIlEET_Lm2ENS7_16DefaultPtrTraitsElEENS_6detail16IndexBoundsCheckILm3ElEESD_Lm3ESE_lEENS9_INSA_ISC_KSD_Lm2ESE_lEESI_SK_Lm3ESE_lEE,"axG",@progbits,_ZN2at6native12_GLOBAL__N_136upsample_linear1d_out_frame_backwardIN3c108BFloat16EfEEviT0_bN5torch10headeronly6detail27GenericPackedTensorAccessorINS8_14TensorAccessorINS3_8ArrayRefIlEET_Lm2ENS7_16DefaultPtrTraitsElEENS_6detail16IndexBoundsCheckILm3ElEESD_Lm3ESE_lEENS9_INSA_ISC_KSD_Lm2ESE_lEESI_SK_Lm3ESE_lEE,comdat
	.globl	_ZN2at6native12_GLOBAL__N_136upsample_linear1d_out_frame_backwardIN3c108BFloat16EfEEviT0_bN5torch10headeronly6detail27GenericPackedTensorAccessorINS8_14TensorAccessorINS3_8ArrayRefIlEET_Lm2ENS7_16DefaultPtrTraitsElEENS_6detail16IndexBoundsCheckILm3ElEESD_Lm3ESE_lEENS9_INSA_ISC_KSD_Lm2ESE_lEESI_SK_Lm3ESE_lEE ; -- Begin function _ZN2at6native12_GLOBAL__N_136upsample_linear1d_out_frame_backwardIN3c108BFloat16EfEEviT0_bN5torch10headeronly6detail27GenericPackedTensorAccessorINS8_14TensorAccessorINS3_8ArrayRefIlEET_Lm2ENS7_16DefaultPtrTraitsElEENS_6detail16IndexBoundsCheckILm3ElEESD_Lm3ESE_lEENS9_INSA_ISC_KSD_Lm2ESE_lEESI_SK_Lm3ESE_lEE
	.p2align	8
	.type	_ZN2at6native12_GLOBAL__N_136upsample_linear1d_out_frame_backwardIN3c108BFloat16EfEEviT0_bN5torch10headeronly6detail27GenericPackedTensorAccessorINS8_14TensorAccessorINS3_8ArrayRefIlEET_Lm2ENS7_16DefaultPtrTraitsElEENS_6detail16IndexBoundsCheckILm3ElEESD_Lm3ESE_lEENS9_INSA_ISC_KSD_Lm2ESE_lEESI_SK_Lm3ESE_lEE,@function
_ZN2at6native12_GLOBAL__N_136upsample_linear1d_out_frame_backwardIN3c108BFloat16EfEEviT0_bN5torch10headeronly6detail27GenericPackedTensorAccessorINS8_14TensorAccessorINS3_8ArrayRefIlEET_Lm2ENS7_16DefaultPtrTraitsElEENS_6detail16IndexBoundsCheckILm3ElEESD_Lm3ESE_lEENS9_INSA_ISC_KSD_Lm2ESE_lEESI_SK_Lm3ESE_lEE: ; @_ZN2at6native12_GLOBAL__N_136upsample_linear1d_out_frame_backwardIN3c108BFloat16EfEEviT0_bN5torch10headeronly6detail27GenericPackedTensorAccessorINS8_14TensorAccessorINS3_8ArrayRefIlEET_Lm2ENS7_16DefaultPtrTraitsElEENS_6detail16IndexBoundsCheckILm3ElEESD_Lm3ESE_lEENS9_INSA_ISC_KSD_Lm2ESE_lEESI_SK_Lm3ESE_lEE
; %bb.0:
	s_load_dword s7, s[4:5], 0x8c
	s_load_dwordx4 s[0:3], s[4:5], 0x0
	s_waitcnt lgkmcnt(0)
	s_and_b32 s3, s7, 0xffff
	s_mul_i32 s6, s6, s3
	v_add_u32_e32 v0, s6, v0
	v_cmp_gt_i32_e32 vcc, s0, v0
	s_and_saveexec_b64 s[6:7], vcc
	s_cbranch_execz .LBB7_23
; %bb.1:
	s_load_dword s3, s[4:5], 0x60
	v_sub_u32_e32 v3, 0, v0
	v_max_i32_e32 v3, v0, v3
	v_ashrrev_i32_e32 v0, 31, v0
	s_load_dwordx4 s[16:19], s[4:5], 0x18
	s_waitcnt lgkmcnt(0)
	s_abs_i32 s6, s3
	v_cvt_f32_u32_e32 v1, s6
	s_sub_i32 s0, 0, s6
	v_rcp_iflag_f32_e32 v1, v1
	v_mul_f32_e32 v1, 0x4f7ffffe, v1
	v_cvt_u32_f32_e32 v1, v1
	v_mul_lo_u32 v2, s0, v1
	s_load_dword s0, s[4:5], 0x28
	v_mul_hi_u32 v2, v1, v2
	s_waitcnt lgkmcnt(0)
	s_cmp_lg_u32 s0, s3
	v_add_u32_e32 v1, v1, v2
	v_mul_hi_u32 v1, v3, v1
	v_mul_lo_u32 v1, v1, s6
	v_sub_u32_e32 v1, v3, v1
	v_subrev_u32_e32 v2, s6, v1
	v_cmp_le_u32_e32 vcc, s6, v1
	v_cndmask_b32_e32 v1, v1, v2, vcc
	v_subrev_u32_e32 v2, s6, v1
	v_cmp_le_u32_e32 vcc, s6, v1
	v_cndmask_b32_e32 v1, v1, v2, vcc
	v_xor_b32_e32 v1, v1, v0
	v_sub_u32_e32 v6, v1, v0
	s_mov_b64 s[6:7], -1
	s_cbranch_scc0 .LBB7_17
; %bb.2:
	v_cvt_f32_i32_e32 v1, v6
	s_bitcmp0_b32 s2, 0
	s_cbranch_scc0 .LBB7_4
; %bb.3:
	v_add_f32_e32 v0, 0.5, v1
	v_fma_f32 v0, s1, v0, -0.5
	v_cmp_ngt_f32_e32 vcc, 0, v0
	v_cndmask_b32_e32 v0, 0, v0, vcc
	s_cbranch_execz .LBB7_5
	s_branch .LBB7_6
.LBB7_4:
                                        ; implicit-def: $vgpr0
.LBB7_5:
	v_mul_f32_e32 v0, s1, v1
.LBB7_6:
	s_cmp_lt_i32 s16, 1
	s_cbranch_scc1 .LBB7_16
; %bb.7:
	v_cvt_i32_f32_e32 v4, v0
	s_add_i32 s19, s0, -1
	s_load_dwordx2 s[0:1], s[4:5], 0x78
	s_load_dwordx4 s[20:23], s[4:5], 0x68
	v_ashrrev_i32_e32 v2, 31, v6
	v_cvt_f32_i32_e32 v1, v4
	s_load_dwordx8 s[8:15], s[4:5], 0x30
	s_waitcnt lgkmcnt(0)
	v_mul_lo_u32 v3, s1, v6
	v_mul_lo_u32 v2, s0, v2
	v_sub_f32_e32 v7, v0, v1
	v_mad_u64_u32 v[0:1], s[0:1], s0, v6, 0
	v_mul_lo_u32 v11, s13, v4
	v_mov_b32_e32 v5, s15
	v_add3_u32 v1, v1, v2, v3
	v_ashrrev_i32_e32 v2, 31, v4
	v_lshlrev_b64 v[0:1], 1, v[0:1]
	v_mul_lo_u32 v12, s12, v2
	v_mad_u64_u32 v[2:3], s[6:7], s12, v4, 0
	v_add_co_u32_e32 v9, vcc, s14, v0
	v_addc_co_u32_e32 v10, vcc, v5, v1, vcc
	v_add3_u32 v3, v3, v12, v11
	v_cmp_gt_i32_e32 vcc, s19, v4
	v_lshlrev_b64 v[0:1], 1, v[2:3]
	v_addc_co_u32_e32 v2, vcc, 0, v4, vcc
	s_load_dwordx2 s[0:1], s[4:5], 0x10
	v_ashrrev_i32_e32 v3, 31, v2
	v_mul_lo_u32 v4, s12, v3
	v_mul_lo_u32 v13, s13, v2
	v_mad_u64_u32 v[2:3], s[6:7], s12, v2, 0
	s_waitcnt lgkmcnt(0)
	v_mov_b32_e32 v5, s1
	v_add_co_u32_e32 v11, vcc, s0, v0
	v_add3_u32 v3, v3, v4, v13
	v_addc_co_u32_e32 v12, vcc, v5, v1, vcc
	v_lshlrev_b64 v[0:1], 1, v[2:3]
	s_cmp_gt_i32 s18, 0
	v_add_co_u32_e32 v13, vcc, s0, v0
	s_mov_b32 s17, 0
	v_sub_f32_e32 v8, 1.0, v7
	s_cselect_b64 s[2:3], -1, 0
	v_addc_co_u32_e32 v14, vcc, v5, v1, vcc
	s_movk_i32 s14, 0x7fff
	s_mov_b32 s15, 0xffff0000
	v_mov_b32_e32 v1, 0
	v_mov_b32_e32 v15, 0x7fc00000
	;; [unrolled: 1-line block ×3, first 2 shown]
	s_branch .LBB7_9
.LBB7_8:                                ;   in Loop: Header=BB7_9 Depth=1
	s_add_i32 s17, s17, 1
	s_cmp_eq_u32 s17, s16
	s_cbranch_scc1 .LBB7_16
.LBB7_9:                                ; =>This Loop Header: Depth=1
                                        ;     Child Loop BB7_11 Depth 2
                                        ;       Child Loop BB7_12 Depth 3
                                        ;       Child Loop BB7_14 Depth 3
	s_andn2_b64 vcc, exec, s[2:3]
	s_cbranch_vccnz .LBB7_8
; %bb.10:                               ;   in Loop: Header=BB7_9 Depth=1
	s_mul_i32 s0, s21, s17
	s_mul_hi_u32 s1, s20, s17
	s_add_i32 s1, s1, s0
	s_mul_i32 s0, s20, s17
	s_lshl_b64 s[0:1], s[0:1], 1
	v_mov_b32_e32 v0, s1
	v_add_co_u32_e32 v17, vcc, s0, v9
	s_mul_i32 s0, s9, s17
	s_mul_hi_u32 s1, s8, s17
	s_add_i32 s1, s1, s0
	s_mul_i32 s0, s8, s17
	v_addc_co_u32_e32 v18, vcc, v10, v0, vcc
	s_lshl_b64 s[0:1], s[0:1], 1
	v_mov_b32_e32 v0, s1
	v_add_co_u32_e32 v19, vcc, s0, v11
	v_addc_co_u32_e32 v20, vcc, v12, v0, vcc
	v_add_co_u32_e32 v21, vcc, s0, v13
	v_addc_co_u32_e32 v22, vcc, v14, v0, vcc
	s_mov_b32 s19, 0
.LBB7_11:                               ;   Parent Loop BB7_9 Depth=1
                                        ; =>  This Loop Header: Depth=2
                                        ;       Child Loop BB7_12 Depth 3
                                        ;       Child Loop BB7_14 Depth 3
	s_mul_i32 s0, s23, s19
	s_mul_hi_u32 s1, s22, s19
	s_add_i32 s1, s1, s0
	s_mul_i32 s0, s22, s19
	s_lshl_b64 s[0:1], s[0:1], 1
	v_mov_b32_e32 v0, s1
	v_add_co_u32_e32 v2, vcc, s0, v17
	s_mul_i32 s0, s11, s19
	s_mul_hi_u32 s1, s10, s19
	v_addc_co_u32_e32 v3, vcc, v18, v0, vcc
	s_add_i32 s1, s1, s0
	s_mul_i32 s0, s10, s19
	s_lshl_b64 s[6:7], s[0:1], 1
	global_load_ushort v23, v[2:3], off
	v_mov_b32_e32 v0, s7
	v_add_co_u32_e32 v4, vcc, s6, v19
	v_addc_co_u32_e32 v5, vcc, v20, v0, vcc
	v_and_b32_e32 v0, 2, v4
	v_sub_co_u32_e32 v2, vcc, 0, v0
	v_subb_co_u32_e64 v3, s[0:1], 0, 0, vcc
	v_add_co_u32_e32 v2, vcc, v4, v2
	v_addc_co_u32_e32 v3, vcc, v5, v3, vcc
	global_load_dword v5, v[2:3], off
	v_cmp_eq_u64_e64 s[0:1], 0, v[0:1]
	s_mov_b64 s[12:13], 0
	s_waitcnt vmcnt(1)
	v_lshlrev_b32_e32 v23, 16, v23
	v_mul_f32_e32 v0, v8, v23
	v_bfe_u32 v4, v0, 16, 1
	v_add3_u32 v4, v0, v4, s14
	v_and_b32_e32 v4, 0xffff0000, v4
	v_cmp_o_f32_e32 vcc, v0, v0
	v_cndmask_b32_e32 v0, v15, v4, vcc
.LBB7_12:                               ;   Parent Loop BB7_9 Depth=1
                                        ;     Parent Loop BB7_11 Depth=2
                                        ; =>    This Inner Loop Header: Depth=3
	s_mov_b64 vcc, s[0:1]
	s_waitcnt vmcnt(0)
	v_and_b32_e32 v4, 0xffff, v5
	v_cndmask_b32_sdwa v24, v5, v4, vcc dst_sel:WORD_1 dst_unused:UNUSED_PAD src0_sel:WORD_1 src1_sel:DWORD
	v_add_f32_e32 v24, v0, v24
	v_bfe_u32 v25, v24, 16, 1
	v_cmp_o_f32_e32 vcc, v24, v24
	v_add3_u32 v24, v24, v25, s14
	v_cndmask_b32_sdwa v24, v16, v24, vcc dst_sel:DWORD dst_unused:UNUSED_PAD src0_sel:DWORD src1_sel:WORD_1
	v_lshl_or_b32 v4, v24, 16, v4
	v_and_or_b32 v24, v5, s15, v24
	v_cndmask_b32_e64 v4, v4, v24, s[0:1]
	global_atomic_cmpswap v4, v[2:3], v[4:5], off glc
	s_waitcnt vmcnt(0)
	v_cmp_eq_u32_e32 vcc, v5, v4
	s_or_b64 s[12:13], vcc, s[12:13]
	v_mov_b32_e32 v5, v4
	s_andn2_b64 exec, exec, s[12:13]
	s_cbranch_execnz .LBB7_12
; %bb.13:                               ;   in Loop: Header=BB7_11 Depth=2
	s_or_b64 exec, exec, s[12:13]
	v_mov_b32_e32 v0, s7
	v_add_co_u32_e32 v2, vcc, s6, v21
	v_addc_co_u32_e32 v3, vcc, v22, v0, vcc
	v_and_b32_e32 v0, 2, v2
	v_sub_co_u32_e32 v4, vcc, 0, v0
	v_subb_co_u32_e64 v5, s[0:1], 0, 0, vcc
	v_add_co_u32_e32 v2, vcc, v2, v4
	v_addc_co_u32_e32 v3, vcc, v3, v5, vcc
	global_load_dword v5, v[2:3], off
	v_mul_f32_e32 v4, v7, v23
	v_bfe_u32 v23, v4, 16, 1
	v_add3_u32 v23, v4, v23, s14
	v_and_b32_e32 v23, 0xffff0000, v23
	v_cmp_eq_u64_e64 s[0:1], 0, v[0:1]
	v_cmp_o_f32_e32 vcc, v4, v4
	s_mov_b64 s[6:7], 0
	v_cndmask_b32_e32 v0, v15, v23, vcc
.LBB7_14:                               ;   Parent Loop BB7_9 Depth=1
                                        ;     Parent Loop BB7_11 Depth=2
                                        ; =>    This Inner Loop Header: Depth=3
	s_mov_b64 vcc, s[0:1]
	s_waitcnt vmcnt(0)
	v_and_b32_e32 v4, 0xffff, v5
	v_cndmask_b32_sdwa v23, v5, v4, vcc dst_sel:WORD_1 dst_unused:UNUSED_PAD src0_sel:WORD_1 src1_sel:DWORD
	v_add_f32_e32 v23, v0, v23
	v_bfe_u32 v24, v23, 16, 1
	v_cmp_o_f32_e32 vcc, v23, v23
	v_add3_u32 v23, v23, v24, s14
	v_cndmask_b32_sdwa v23, v16, v23, vcc dst_sel:DWORD dst_unused:UNUSED_PAD src0_sel:DWORD src1_sel:WORD_1
	v_lshl_or_b32 v4, v23, 16, v4
	v_and_or_b32 v23, v5, s15, v23
	v_cndmask_b32_e64 v4, v4, v23, s[0:1]
	global_atomic_cmpswap v4, v[2:3], v[4:5], off glc
	s_waitcnt vmcnt(0)
	v_cmp_eq_u32_e32 vcc, v5, v4
	s_or_b64 s[6:7], vcc, s[6:7]
	v_mov_b32_e32 v5, v4
	s_andn2_b64 exec, exec, s[6:7]
	s_cbranch_execnz .LBB7_14
; %bb.15:                               ;   in Loop: Header=BB7_11 Depth=2
	s_or_b64 exec, exec, s[6:7]
	s_add_i32 s19, s19, 1
	s_cmp_eq_u32 s19, s18
	s_cbranch_scc0 .LBB7_11
	s_branch .LBB7_8
.LBB7_16:
	s_mov_b64 s[6:7], 0
.LBB7_17:
	s_and_b64 vcc, exec, s[6:7]
	s_cbranch_vccz .LBB7_23
; %bb.18:
	s_cmp_lt_i32 s16, 1
	s_cbranch_scc1 .LBB7_23
; %bb.19:
	s_load_dwordx2 s[0:1], s[4:5], 0x78
	s_load_dwordx4 s[12:15], s[4:5], 0x68
	v_ashrrev_i32_e32 v2, 31, v6
	s_load_dwordx8 s[20:27], s[4:5], 0x30
	s_load_dwordx2 s[2:3], s[4:5], 0x10
	s_waitcnt lgkmcnt(0)
	v_mul_lo_u32 v3, s1, v6
	v_mul_lo_u32 v4, s0, v2
	v_mad_u64_u32 v[0:1], s[0:1], s0, v6, 0
	v_mul_lo_u32 v5, s25, v6
	v_mul_lo_u32 v7, s24, v2
	v_add3_u32 v1, v1, v4, v3
	v_mad_u64_u32 v[2:3], s[4:5], s24, v6, 0
	v_lshlrev_b64 v[0:1], 1, v[0:1]
	v_mov_b32_e32 v4, s27
	v_add3_u32 v3, v3, v7, v5
	v_add_co_u32_e32 v0, vcc, s26, v0
	v_lshlrev_b64 v[2:3], 1, v[2:3]
	s_cmp_gt_i32 s18, 0
	v_addc_co_u32_e32 v1, vcc, v4, v1, vcc
	s_cselect_b64 s[0:1], -1, 0
	v_mov_b32_e32 v4, s3
	v_add_co_u32_e32 v2, vcc, s2, v2
	v_addc_co_u32_e32 v3, vcc, v4, v3, vcc
	v_cndmask_b32_e64 v4, 0, 1, s[0:1]
	s_mov_b32 s10, 0
	s_lshl_b64 s[2:3], s[20:21], 1
	s_lshl_b64 s[4:5], s[22:23], 1
	;; [unrolled: 1-line block ×4, first 2 shown]
	v_cmp_ne_u32_e64 s[0:1], 1, v4
	s_branch .LBB7_21
.LBB7_20:                               ;   in Loop: Header=BB7_21 Depth=1
	v_mov_b32_e32 v4, s3
	v_add_co_u32_e32 v2, vcc, s2, v2
	v_addc_co_u32_e32 v3, vcc, v3, v4, vcc
	s_add_i32 s10, s10, 1
	v_mov_b32_e32 v4, s7
	v_add_co_u32_e32 v0, vcc, s6, v0
	s_cmp_eq_u32 s10, s16
	v_addc_co_u32_e32 v1, vcc, v1, v4, vcc
	s_cbranch_scc1 .LBB7_23
.LBB7_21:                               ; =>This Loop Header: Depth=1
                                        ;     Child Loop BB7_22 Depth 2
	v_mov_b32_e32 v5, v1
	v_mov_b32_e32 v7, v3
	s_and_b64 vcc, exec, s[0:1]
	v_mov_b32_e32 v4, v0
	v_mov_b32_e32 v6, v2
	s_mov_b32 s11, s18
	s_cbranch_vccnz .LBB7_20
.LBB7_22:                               ;   Parent Loop BB7_21 Depth=1
                                        ; =>  This Inner Loop Header: Depth=2
	global_load_ushort v8, v[4:5], off
	v_mov_b32_e32 v10, s9
	v_add_co_u32_e32 v4, vcc, s8, v4
	v_addc_co_u32_e32 v5, vcc, v5, v10, vcc
	s_add_i32 s11, s11, -1
	v_mov_b32_e32 v9, s5
	s_cmp_eq_u32 s11, 0
	s_waitcnt vmcnt(0)
	global_store_short v[6:7], v8, off
	v_add_co_u32_e32 v6, vcc, s4, v6
	v_addc_co_u32_e32 v7, vcc, v7, v9, vcc
	s_cbranch_scc0 .LBB7_22
	s_branch .LBB7_20
.LBB7_23:
	s_endpgm
	.section	.rodata,"a",@progbits
	.p2align	6, 0x0
	.amdhsa_kernel _ZN2at6native12_GLOBAL__N_136upsample_linear1d_out_frame_backwardIN3c108BFloat16EfEEviT0_bN5torch10headeronly6detail27GenericPackedTensorAccessorINS8_14TensorAccessorINS3_8ArrayRefIlEET_Lm2ENS7_16DefaultPtrTraitsElEENS_6detail16IndexBoundsCheckILm3ElEESD_Lm3ESE_lEENS9_INSA_ISC_KSD_Lm2ESE_lEESI_SK_Lm3ESE_lEE
		.amdhsa_group_segment_fixed_size 0
		.amdhsa_private_segment_fixed_size 0
		.amdhsa_kernarg_size 384
		.amdhsa_user_sgpr_count 6
		.amdhsa_user_sgpr_private_segment_buffer 1
		.amdhsa_user_sgpr_dispatch_ptr 0
		.amdhsa_user_sgpr_queue_ptr 0
		.amdhsa_user_sgpr_kernarg_segment_ptr 1
		.amdhsa_user_sgpr_dispatch_id 0
		.amdhsa_user_sgpr_flat_scratch_init 0
		.amdhsa_user_sgpr_private_segment_size 0
		.amdhsa_uses_dynamic_stack 0
		.amdhsa_system_sgpr_private_segment_wavefront_offset 0
		.amdhsa_system_sgpr_workgroup_id_x 1
		.amdhsa_system_sgpr_workgroup_id_y 0
		.amdhsa_system_sgpr_workgroup_id_z 0
		.amdhsa_system_sgpr_workgroup_info 0
		.amdhsa_system_vgpr_workitem_id 0
		.amdhsa_next_free_vgpr 26
		.amdhsa_next_free_sgpr 28
		.amdhsa_reserve_vcc 1
		.amdhsa_reserve_flat_scratch 0
		.amdhsa_float_round_mode_32 0
		.amdhsa_float_round_mode_16_64 0
		.amdhsa_float_denorm_mode_32 3
		.amdhsa_float_denorm_mode_16_64 3
		.amdhsa_dx10_clamp 1
		.amdhsa_ieee_mode 1
		.amdhsa_fp16_overflow 0
		.amdhsa_exception_fp_ieee_invalid_op 0
		.amdhsa_exception_fp_denorm_src 0
		.amdhsa_exception_fp_ieee_div_zero 0
		.amdhsa_exception_fp_ieee_overflow 0
		.amdhsa_exception_fp_ieee_underflow 0
		.amdhsa_exception_fp_ieee_inexact 0
		.amdhsa_exception_int_div_zero 0
	.end_amdhsa_kernel
	.section	.text._ZN2at6native12_GLOBAL__N_136upsample_linear1d_out_frame_backwardIN3c108BFloat16EfEEviT0_bN5torch10headeronly6detail27GenericPackedTensorAccessorINS8_14TensorAccessorINS3_8ArrayRefIlEET_Lm2ENS7_16DefaultPtrTraitsElEENS_6detail16IndexBoundsCheckILm3ElEESD_Lm3ESE_lEENS9_INSA_ISC_KSD_Lm2ESE_lEESI_SK_Lm3ESE_lEE,"axG",@progbits,_ZN2at6native12_GLOBAL__N_136upsample_linear1d_out_frame_backwardIN3c108BFloat16EfEEviT0_bN5torch10headeronly6detail27GenericPackedTensorAccessorINS8_14TensorAccessorINS3_8ArrayRefIlEET_Lm2ENS7_16DefaultPtrTraitsElEENS_6detail16IndexBoundsCheckILm3ElEESD_Lm3ESE_lEENS9_INSA_ISC_KSD_Lm2ESE_lEESI_SK_Lm3ESE_lEE,comdat
.Lfunc_end7:
	.size	_ZN2at6native12_GLOBAL__N_136upsample_linear1d_out_frame_backwardIN3c108BFloat16EfEEviT0_bN5torch10headeronly6detail27GenericPackedTensorAccessorINS8_14TensorAccessorINS3_8ArrayRefIlEET_Lm2ENS7_16DefaultPtrTraitsElEENS_6detail16IndexBoundsCheckILm3ElEESD_Lm3ESE_lEENS9_INSA_ISC_KSD_Lm2ESE_lEESI_SK_Lm3ESE_lEE, .Lfunc_end7-_ZN2at6native12_GLOBAL__N_136upsample_linear1d_out_frame_backwardIN3c108BFloat16EfEEviT0_bN5torch10headeronly6detail27GenericPackedTensorAccessorINS8_14TensorAccessorINS3_8ArrayRefIlEET_Lm2ENS7_16DefaultPtrTraitsElEENS_6detail16IndexBoundsCheckILm3ElEESD_Lm3ESE_lEENS9_INSA_ISC_KSD_Lm2ESE_lEESI_SK_Lm3ESE_lEE
                                        ; -- End function
	.set _ZN2at6native12_GLOBAL__N_136upsample_linear1d_out_frame_backwardIN3c108BFloat16EfEEviT0_bN5torch10headeronly6detail27GenericPackedTensorAccessorINS8_14TensorAccessorINS3_8ArrayRefIlEET_Lm2ENS7_16DefaultPtrTraitsElEENS_6detail16IndexBoundsCheckILm3ElEESD_Lm3ESE_lEENS9_INSA_ISC_KSD_Lm2ESE_lEESI_SK_Lm3ESE_lEE.num_vgpr, 26
	.set _ZN2at6native12_GLOBAL__N_136upsample_linear1d_out_frame_backwardIN3c108BFloat16EfEEviT0_bN5torch10headeronly6detail27GenericPackedTensorAccessorINS8_14TensorAccessorINS3_8ArrayRefIlEET_Lm2ENS7_16DefaultPtrTraitsElEENS_6detail16IndexBoundsCheckILm3ElEESD_Lm3ESE_lEENS9_INSA_ISC_KSD_Lm2ESE_lEESI_SK_Lm3ESE_lEE.num_agpr, 0
	.set _ZN2at6native12_GLOBAL__N_136upsample_linear1d_out_frame_backwardIN3c108BFloat16EfEEviT0_bN5torch10headeronly6detail27GenericPackedTensorAccessorINS8_14TensorAccessorINS3_8ArrayRefIlEET_Lm2ENS7_16DefaultPtrTraitsElEENS_6detail16IndexBoundsCheckILm3ElEESD_Lm3ESE_lEENS9_INSA_ISC_KSD_Lm2ESE_lEESI_SK_Lm3ESE_lEE.numbered_sgpr, 28
	.set _ZN2at6native12_GLOBAL__N_136upsample_linear1d_out_frame_backwardIN3c108BFloat16EfEEviT0_bN5torch10headeronly6detail27GenericPackedTensorAccessorINS8_14TensorAccessorINS3_8ArrayRefIlEET_Lm2ENS7_16DefaultPtrTraitsElEENS_6detail16IndexBoundsCheckILm3ElEESD_Lm3ESE_lEENS9_INSA_ISC_KSD_Lm2ESE_lEESI_SK_Lm3ESE_lEE.num_named_barrier, 0
	.set _ZN2at6native12_GLOBAL__N_136upsample_linear1d_out_frame_backwardIN3c108BFloat16EfEEviT0_bN5torch10headeronly6detail27GenericPackedTensorAccessorINS8_14TensorAccessorINS3_8ArrayRefIlEET_Lm2ENS7_16DefaultPtrTraitsElEENS_6detail16IndexBoundsCheckILm3ElEESD_Lm3ESE_lEENS9_INSA_ISC_KSD_Lm2ESE_lEESI_SK_Lm3ESE_lEE.private_seg_size, 0
	.set _ZN2at6native12_GLOBAL__N_136upsample_linear1d_out_frame_backwardIN3c108BFloat16EfEEviT0_bN5torch10headeronly6detail27GenericPackedTensorAccessorINS8_14TensorAccessorINS3_8ArrayRefIlEET_Lm2ENS7_16DefaultPtrTraitsElEENS_6detail16IndexBoundsCheckILm3ElEESD_Lm3ESE_lEENS9_INSA_ISC_KSD_Lm2ESE_lEESI_SK_Lm3ESE_lEE.uses_vcc, 1
	.set _ZN2at6native12_GLOBAL__N_136upsample_linear1d_out_frame_backwardIN3c108BFloat16EfEEviT0_bN5torch10headeronly6detail27GenericPackedTensorAccessorINS8_14TensorAccessorINS3_8ArrayRefIlEET_Lm2ENS7_16DefaultPtrTraitsElEENS_6detail16IndexBoundsCheckILm3ElEESD_Lm3ESE_lEENS9_INSA_ISC_KSD_Lm2ESE_lEESI_SK_Lm3ESE_lEE.uses_flat_scratch, 0
	.set _ZN2at6native12_GLOBAL__N_136upsample_linear1d_out_frame_backwardIN3c108BFloat16EfEEviT0_bN5torch10headeronly6detail27GenericPackedTensorAccessorINS8_14TensorAccessorINS3_8ArrayRefIlEET_Lm2ENS7_16DefaultPtrTraitsElEENS_6detail16IndexBoundsCheckILm3ElEESD_Lm3ESE_lEENS9_INSA_ISC_KSD_Lm2ESE_lEESI_SK_Lm3ESE_lEE.has_dyn_sized_stack, 0
	.set _ZN2at6native12_GLOBAL__N_136upsample_linear1d_out_frame_backwardIN3c108BFloat16EfEEviT0_bN5torch10headeronly6detail27GenericPackedTensorAccessorINS8_14TensorAccessorINS3_8ArrayRefIlEET_Lm2ENS7_16DefaultPtrTraitsElEENS_6detail16IndexBoundsCheckILm3ElEESD_Lm3ESE_lEENS9_INSA_ISC_KSD_Lm2ESE_lEESI_SK_Lm3ESE_lEE.has_recursion, 0
	.set _ZN2at6native12_GLOBAL__N_136upsample_linear1d_out_frame_backwardIN3c108BFloat16EfEEviT0_bN5torch10headeronly6detail27GenericPackedTensorAccessorINS8_14TensorAccessorINS3_8ArrayRefIlEET_Lm2ENS7_16DefaultPtrTraitsElEENS_6detail16IndexBoundsCheckILm3ElEESD_Lm3ESE_lEENS9_INSA_ISC_KSD_Lm2ESE_lEESI_SK_Lm3ESE_lEE.has_indirect_call, 0
	.section	.AMDGPU.csdata,"",@progbits
; Kernel info:
; codeLenInByte = 1472
; TotalNumSgprs: 32
; NumVgprs: 26
; ScratchSize: 0
; MemoryBound: 0
; FloatMode: 240
; IeeeMode: 1
; LDSByteSize: 0 bytes/workgroup (compile time only)
; SGPRBlocks: 3
; VGPRBlocks: 6
; NumSGPRsForWavesPerEU: 32
; NumVGPRsForWavesPerEU: 26
; Occupancy: 9
; WaveLimiterHint : 1
; COMPUTE_PGM_RSRC2:SCRATCH_EN: 0
; COMPUTE_PGM_RSRC2:USER_SGPR: 6
; COMPUTE_PGM_RSRC2:TRAP_HANDLER: 0
; COMPUTE_PGM_RSRC2:TGID_X_EN: 1
; COMPUTE_PGM_RSRC2:TGID_Y_EN: 0
; COMPUTE_PGM_RSRC2:TGID_Z_EN: 0
; COMPUTE_PGM_RSRC2:TIDIG_COMP_CNT: 0
	.section	.AMDGPU.gpr_maximums,"",@progbits
	.set amdgpu.max_num_vgpr, 0
	.set amdgpu.max_num_agpr, 0
	.set amdgpu.max_num_sgpr, 0
	.section	.AMDGPU.csdata,"",@progbits
	.type	__hip_cuid_d56a877057d53888,@object ; @__hip_cuid_d56a877057d53888
	.section	.bss,"aw",@nobits
	.globl	__hip_cuid_d56a877057d53888
__hip_cuid_d56a877057d53888:
	.byte	0                               ; 0x0
	.size	__hip_cuid_d56a877057d53888, 1

	.ident	"AMD clang version 22.0.0git (https://github.com/RadeonOpenCompute/llvm-project roc-7.2.4 26084 f58b06dce1f9c15707c5f808fd002e18c2accf7e)"
	.section	".note.GNU-stack","",@progbits
	.addrsig
	.addrsig_sym __hip_cuid_d56a877057d53888
	.amdgpu_metadata
---
amdhsa.kernels:
  - .args:
      - .offset:         0
        .size:           4
        .value_kind:     by_value
      - .offset:         8
        .size:           8
        .value_kind:     by_value
      - .offset:         16
        .size:           1
        .value_kind:     by_value
      - .offset:         24
        .size:           56
        .value_kind:     by_value
      - .offset:         80
        .size:           56
        .value_kind:     by_value
      - .offset:         136
        .size:           4
        .value_kind:     hidden_block_count_x
      - .offset:         140
        .size:           4
        .value_kind:     hidden_block_count_y
      - .offset:         144
        .size:           4
        .value_kind:     hidden_block_count_z
      - .offset:         148
        .size:           2
        .value_kind:     hidden_group_size_x
      - .offset:         150
        .size:           2
        .value_kind:     hidden_group_size_y
      - .offset:         152
        .size:           2
        .value_kind:     hidden_group_size_z
      - .offset:         154
        .size:           2
        .value_kind:     hidden_remainder_x
      - .offset:         156
        .size:           2
        .value_kind:     hidden_remainder_y
      - .offset:         158
        .size:           2
        .value_kind:     hidden_remainder_z
      - .offset:         176
        .size:           8
        .value_kind:     hidden_global_offset_x
      - .offset:         184
        .size:           8
        .value_kind:     hidden_global_offset_y
      - .offset:         192
        .size:           8
        .value_kind:     hidden_global_offset_z
      - .offset:         200
        .size:           2
        .value_kind:     hidden_grid_dims
    .group_segment_fixed_size: 0
    .kernarg_segment_align: 8
    .kernarg_segment_size: 392
    .language:       OpenCL C
    .language_version:
      - 2
      - 0
    .max_flat_workgroup_size: 512
    .name:           _ZN2at6native12_GLOBAL__N_127upsample_linear1d_out_frameIddEEviT0_bN5torch10headeronly6detail27GenericPackedTensorAccessorINS6_14TensorAccessorIN3c108ArrayRefIlEEKT_Lm2ENS5_16DefaultPtrTraitsElEENS_6detail16IndexBoundsCheckILm3ElEESD_Lm3ESE_lEENS7_INS8_ISB_SC_Lm2ESE_lEESI_SC_Lm3ESE_lEE
    .private_segment_fixed_size: 0
    .sgpr_count:     30
    .sgpr_spill_count: 0
    .symbol:         _ZN2at6native12_GLOBAL__N_127upsample_linear1d_out_frameIddEEviT0_bN5torch10headeronly6detail27GenericPackedTensorAccessorINS6_14TensorAccessorIN3c108ArrayRefIlEEKT_Lm2ENS5_16DefaultPtrTraitsElEENS_6detail16IndexBoundsCheckILm3ElEESD_Lm3ESE_lEENS7_INS8_ISB_SC_Lm2ESE_lEESI_SC_Lm3ESE_lEE.kd
    .uniform_work_group_size: 1
    .uses_dynamic_stack: false
    .vgpr_count:     18
    .vgpr_spill_count: 0
    .wavefront_size: 64
  - .args:
      - .offset:         0
        .size:           4
        .value_kind:     by_value
      - .offset:         4
        .size:           4
        .value_kind:     by_value
      - .offset:         8
        .size:           1
        .value_kind:     by_value
      - .offset:         16
        .size:           56
        .value_kind:     by_value
      - .offset:         72
        .size:           56
        .value_kind:     by_value
      - .offset:         128
        .size:           4
        .value_kind:     hidden_block_count_x
      - .offset:         132
        .size:           4
        .value_kind:     hidden_block_count_y
      - .offset:         136
        .size:           4
        .value_kind:     hidden_block_count_z
      - .offset:         140
        .size:           2
        .value_kind:     hidden_group_size_x
      - .offset:         142
        .size:           2
        .value_kind:     hidden_group_size_y
      - .offset:         144
        .size:           2
        .value_kind:     hidden_group_size_z
      - .offset:         146
        .size:           2
        .value_kind:     hidden_remainder_x
      - .offset:         148
        .size:           2
        .value_kind:     hidden_remainder_y
      - .offset:         150
        .size:           2
        .value_kind:     hidden_remainder_z
      - .offset:         168
        .size:           8
        .value_kind:     hidden_global_offset_x
      - .offset:         176
        .size:           8
        .value_kind:     hidden_global_offset_y
      - .offset:         184
        .size:           8
        .value_kind:     hidden_global_offset_z
      - .offset:         192
        .size:           2
        .value_kind:     hidden_grid_dims
    .group_segment_fixed_size: 0
    .kernarg_segment_align: 8
    .kernarg_segment_size: 384
    .language:       OpenCL C
    .language_version:
      - 2
      - 0
    .max_flat_workgroup_size: 512
    .name:           _ZN2at6native12_GLOBAL__N_127upsample_linear1d_out_frameIffEEviT0_bN5torch10headeronly6detail27GenericPackedTensorAccessorINS6_14TensorAccessorIN3c108ArrayRefIlEEKT_Lm2ENS5_16DefaultPtrTraitsElEENS_6detail16IndexBoundsCheckILm3ElEESD_Lm3ESE_lEENS7_INS8_ISB_SC_Lm2ESE_lEESI_SC_Lm3ESE_lEE
    .private_segment_fixed_size: 0
    .sgpr_count:     28
    .sgpr_spill_count: 0
    .symbol:         _ZN2at6native12_GLOBAL__N_127upsample_linear1d_out_frameIffEEviT0_bN5torch10headeronly6detail27GenericPackedTensorAccessorINS6_14TensorAccessorIN3c108ArrayRefIlEEKT_Lm2ENS5_16DefaultPtrTraitsElEENS_6detail16IndexBoundsCheckILm3ElEESD_Lm3ESE_lEENS7_INS8_ISB_SC_Lm2ESE_lEESI_SC_Lm3ESE_lEE.kd
    .uniform_work_group_size: 1
    .uses_dynamic_stack: false
    .vgpr_count:     17
    .vgpr_spill_count: 0
    .wavefront_size: 64
  - .args:
      - .offset:         0
        .size:           4
        .value_kind:     by_value
      - .offset:         4
        .size:           4
        .value_kind:     by_value
      - .offset:         8
        .size:           1
        .value_kind:     by_value
      - .offset:         16
        .size:           56
        .value_kind:     by_value
      - .offset:         72
        .size:           56
        .value_kind:     by_value
      - .offset:         128
        .size:           4
        .value_kind:     hidden_block_count_x
      - .offset:         132
        .size:           4
        .value_kind:     hidden_block_count_y
      - .offset:         136
        .size:           4
        .value_kind:     hidden_block_count_z
      - .offset:         140
        .size:           2
        .value_kind:     hidden_group_size_x
      - .offset:         142
        .size:           2
        .value_kind:     hidden_group_size_y
      - .offset:         144
        .size:           2
        .value_kind:     hidden_group_size_z
      - .offset:         146
        .size:           2
        .value_kind:     hidden_remainder_x
      - .offset:         148
        .size:           2
        .value_kind:     hidden_remainder_y
      - .offset:         150
        .size:           2
        .value_kind:     hidden_remainder_z
      - .offset:         168
        .size:           8
        .value_kind:     hidden_global_offset_x
      - .offset:         176
        .size:           8
        .value_kind:     hidden_global_offset_y
      - .offset:         184
        .size:           8
        .value_kind:     hidden_global_offset_z
      - .offset:         192
        .size:           2
        .value_kind:     hidden_grid_dims
    .group_segment_fixed_size: 0
    .kernarg_segment_align: 8
    .kernarg_segment_size: 384
    .language:       OpenCL C
    .language_version:
      - 2
      - 0
    .max_flat_workgroup_size: 512
    .name:           _ZN2at6native12_GLOBAL__N_127upsample_linear1d_out_frameIN3c104HalfEfEEviT0_bN5torch10headeronly6detail27GenericPackedTensorAccessorINS8_14TensorAccessorINS3_8ArrayRefIlEEKT_Lm2ENS7_16DefaultPtrTraitsElEENS_6detail16IndexBoundsCheckILm3ElEESE_Lm3ESF_lEENS9_INSA_ISC_SD_Lm2ESF_lEESJ_SD_Lm3ESF_lEE
    .private_segment_fixed_size: 0
    .sgpr_count:     28
    .sgpr_spill_count: 0
    .symbol:         _ZN2at6native12_GLOBAL__N_127upsample_linear1d_out_frameIN3c104HalfEfEEviT0_bN5torch10headeronly6detail27GenericPackedTensorAccessorINS8_14TensorAccessorINS3_8ArrayRefIlEEKT_Lm2ENS7_16DefaultPtrTraitsElEENS_6detail16IndexBoundsCheckILm3ElEESE_Lm3ESF_lEENS9_INSA_ISC_SD_Lm2ESF_lEESJ_SD_Lm3ESF_lEE.kd
    .uniform_work_group_size: 1
    .uses_dynamic_stack: false
    .vgpr_count:     17
    .vgpr_spill_count: 0
    .wavefront_size: 64
  - .args:
      - .offset:         0
        .size:           4
        .value_kind:     by_value
      - .offset:         4
        .size:           4
        .value_kind:     by_value
      - .offset:         8
        .size:           1
        .value_kind:     by_value
      - .offset:         16
        .size:           56
        .value_kind:     by_value
      - .offset:         72
        .size:           56
        .value_kind:     by_value
      - .offset:         128
        .size:           4
        .value_kind:     hidden_block_count_x
      - .offset:         132
        .size:           4
        .value_kind:     hidden_block_count_y
      - .offset:         136
        .size:           4
        .value_kind:     hidden_block_count_z
      - .offset:         140
        .size:           2
        .value_kind:     hidden_group_size_x
      - .offset:         142
        .size:           2
        .value_kind:     hidden_group_size_y
      - .offset:         144
        .size:           2
        .value_kind:     hidden_group_size_z
      - .offset:         146
        .size:           2
        .value_kind:     hidden_remainder_x
      - .offset:         148
        .size:           2
        .value_kind:     hidden_remainder_y
      - .offset:         150
        .size:           2
        .value_kind:     hidden_remainder_z
      - .offset:         168
        .size:           8
        .value_kind:     hidden_global_offset_x
      - .offset:         176
        .size:           8
        .value_kind:     hidden_global_offset_y
      - .offset:         184
        .size:           8
        .value_kind:     hidden_global_offset_z
      - .offset:         192
        .size:           2
        .value_kind:     hidden_grid_dims
    .group_segment_fixed_size: 0
    .kernarg_segment_align: 8
    .kernarg_segment_size: 384
    .language:       OpenCL C
    .language_version:
      - 2
      - 0
    .max_flat_workgroup_size: 512
    .name:           _ZN2at6native12_GLOBAL__N_127upsample_linear1d_out_frameIN3c108BFloat16EfEEviT0_bN5torch10headeronly6detail27GenericPackedTensorAccessorINS8_14TensorAccessorINS3_8ArrayRefIlEEKT_Lm2ENS7_16DefaultPtrTraitsElEENS_6detail16IndexBoundsCheckILm3ElEESE_Lm3ESF_lEENS9_INSA_ISC_SD_Lm2ESF_lEESJ_SD_Lm3ESF_lEE
    .private_segment_fixed_size: 0
    .sgpr_count:     28
    .sgpr_spill_count: 0
    .symbol:         _ZN2at6native12_GLOBAL__N_127upsample_linear1d_out_frameIN3c108BFloat16EfEEviT0_bN5torch10headeronly6detail27GenericPackedTensorAccessorINS8_14TensorAccessorINS3_8ArrayRefIlEEKT_Lm2ENS7_16DefaultPtrTraitsElEENS_6detail16IndexBoundsCheckILm3ElEESE_Lm3ESF_lEENS9_INSA_ISC_SD_Lm2ESF_lEESJ_SD_Lm3ESF_lEE.kd
    .uniform_work_group_size: 1
    .uses_dynamic_stack: false
    .vgpr_count:     18
    .vgpr_spill_count: 0
    .wavefront_size: 64
  - .args:
      - .offset:         0
        .size:           4
        .value_kind:     by_value
      - .offset:         8
        .size:           8
        .value_kind:     by_value
      - .offset:         16
        .size:           1
        .value_kind:     by_value
      - .offset:         24
        .size:           56
        .value_kind:     by_value
      - .offset:         80
        .size:           56
        .value_kind:     by_value
      - .offset:         136
        .size:           4
        .value_kind:     hidden_block_count_x
      - .offset:         140
        .size:           4
        .value_kind:     hidden_block_count_y
      - .offset:         144
        .size:           4
        .value_kind:     hidden_block_count_z
      - .offset:         148
        .size:           2
        .value_kind:     hidden_group_size_x
      - .offset:         150
        .size:           2
        .value_kind:     hidden_group_size_y
      - .offset:         152
        .size:           2
        .value_kind:     hidden_group_size_z
      - .offset:         154
        .size:           2
        .value_kind:     hidden_remainder_x
      - .offset:         156
        .size:           2
        .value_kind:     hidden_remainder_y
      - .offset:         158
        .size:           2
        .value_kind:     hidden_remainder_z
      - .offset:         176
        .size:           8
        .value_kind:     hidden_global_offset_x
      - .offset:         184
        .size:           8
        .value_kind:     hidden_global_offset_y
      - .offset:         192
        .size:           8
        .value_kind:     hidden_global_offset_z
      - .offset:         200
        .size:           2
        .value_kind:     hidden_grid_dims
    .group_segment_fixed_size: 0
    .kernarg_segment_align: 8
    .kernarg_segment_size: 392
    .language:       OpenCL C
    .language_version:
      - 2
      - 0
    .max_flat_workgroup_size: 512
    .name:           _ZN2at6native12_GLOBAL__N_136upsample_linear1d_out_frame_backwardIddEEviT0_bN5torch10headeronly6detail27GenericPackedTensorAccessorINS6_14TensorAccessorIN3c108ArrayRefIlEET_Lm2ENS5_16DefaultPtrTraitsElEENS_6detail16IndexBoundsCheckILm3ElEESC_Lm3ESD_lEENS7_INS8_ISB_KSC_Lm2ESD_lEESH_SJ_Lm3ESD_lEE
    .private_segment_fixed_size: 0
    .sgpr_count:     32
    .sgpr_spill_count: 0
    .symbol:         _ZN2at6native12_GLOBAL__N_136upsample_linear1d_out_frame_backwardIddEEviT0_bN5torch10headeronly6detail27GenericPackedTensorAccessorINS6_14TensorAccessorIN3c108ArrayRefIlEET_Lm2ENS5_16DefaultPtrTraitsElEENS_6detail16IndexBoundsCheckILm3ElEESC_Lm3ESD_lEENS7_INS8_ISB_KSC_Lm2ESD_lEESH_SJ_Lm3ESD_lEE.kd
    .uniform_work_group_size: 1
    .uses_dynamic_stack: false
    .vgpr_count:     25
    .vgpr_spill_count: 0
    .wavefront_size: 64
  - .args:
      - .offset:         0
        .size:           4
        .value_kind:     by_value
      - .offset:         4
        .size:           4
        .value_kind:     by_value
      - .offset:         8
        .size:           1
        .value_kind:     by_value
      - .offset:         16
        .size:           56
        .value_kind:     by_value
      - .offset:         72
        .size:           56
        .value_kind:     by_value
      - .offset:         128
        .size:           4
        .value_kind:     hidden_block_count_x
      - .offset:         132
        .size:           4
        .value_kind:     hidden_block_count_y
      - .offset:         136
        .size:           4
        .value_kind:     hidden_block_count_z
      - .offset:         140
        .size:           2
        .value_kind:     hidden_group_size_x
      - .offset:         142
        .size:           2
        .value_kind:     hidden_group_size_y
      - .offset:         144
        .size:           2
        .value_kind:     hidden_group_size_z
      - .offset:         146
        .size:           2
        .value_kind:     hidden_remainder_x
      - .offset:         148
        .size:           2
        .value_kind:     hidden_remainder_y
      - .offset:         150
        .size:           2
        .value_kind:     hidden_remainder_z
      - .offset:         168
        .size:           8
        .value_kind:     hidden_global_offset_x
      - .offset:         176
        .size:           8
        .value_kind:     hidden_global_offset_y
      - .offset:         184
        .size:           8
        .value_kind:     hidden_global_offset_z
      - .offset:         192
        .size:           2
        .value_kind:     hidden_grid_dims
    .group_segment_fixed_size: 0
    .kernarg_segment_align: 8
    .kernarg_segment_size: 384
    .language:       OpenCL C
    .language_version:
      - 2
      - 0
    .max_flat_workgroup_size: 512
    .name:           _ZN2at6native12_GLOBAL__N_136upsample_linear1d_out_frame_backwardIffEEviT0_bN5torch10headeronly6detail27GenericPackedTensorAccessorINS6_14TensorAccessorIN3c108ArrayRefIlEET_Lm2ENS5_16DefaultPtrTraitsElEENS_6detail16IndexBoundsCheckILm3ElEESC_Lm3ESD_lEENS7_INS8_ISB_KSC_Lm2ESD_lEESH_SJ_Lm3ESD_lEE
    .private_segment_fixed_size: 0
    .sgpr_count:     32
    .sgpr_spill_count: 0
    .symbol:         _ZN2at6native12_GLOBAL__N_136upsample_linear1d_out_frame_backwardIffEEviT0_bN5torch10headeronly6detail27GenericPackedTensorAccessorINS6_14TensorAccessorIN3c108ArrayRefIlEET_Lm2ENS5_16DefaultPtrTraitsElEENS_6detail16IndexBoundsCheckILm3ElEESC_Lm3ESD_lEENS7_INS8_ISB_KSC_Lm2ESD_lEESH_SJ_Lm3ESD_lEE.kd
    .uniform_work_group_size: 1
    .uses_dynamic_stack: false
    .vgpr_count:     21
    .vgpr_spill_count: 0
    .wavefront_size: 64
  - .args:
      - .offset:         0
        .size:           4
        .value_kind:     by_value
      - .offset:         4
        .size:           4
        .value_kind:     by_value
      - .offset:         8
        .size:           1
        .value_kind:     by_value
      - .offset:         16
        .size:           56
        .value_kind:     by_value
      - .offset:         72
        .size:           56
        .value_kind:     by_value
      - .offset:         128
        .size:           4
        .value_kind:     hidden_block_count_x
      - .offset:         132
        .size:           4
        .value_kind:     hidden_block_count_y
      - .offset:         136
        .size:           4
        .value_kind:     hidden_block_count_z
      - .offset:         140
        .size:           2
        .value_kind:     hidden_group_size_x
      - .offset:         142
        .size:           2
        .value_kind:     hidden_group_size_y
      - .offset:         144
        .size:           2
        .value_kind:     hidden_group_size_z
      - .offset:         146
        .size:           2
        .value_kind:     hidden_remainder_x
      - .offset:         148
        .size:           2
        .value_kind:     hidden_remainder_y
      - .offset:         150
        .size:           2
        .value_kind:     hidden_remainder_z
      - .offset:         168
        .size:           8
        .value_kind:     hidden_global_offset_x
      - .offset:         176
        .size:           8
        .value_kind:     hidden_global_offset_y
      - .offset:         184
        .size:           8
        .value_kind:     hidden_global_offset_z
      - .offset:         192
        .size:           2
        .value_kind:     hidden_grid_dims
    .group_segment_fixed_size: 0
    .kernarg_segment_align: 8
    .kernarg_segment_size: 384
    .language:       OpenCL C
    .language_version:
      - 2
      - 0
    .max_flat_workgroup_size: 512
    .name:           _ZN2at6native12_GLOBAL__N_136upsample_linear1d_out_frame_backwardIN3c104HalfEfEEviT0_bN5torch10headeronly6detail27GenericPackedTensorAccessorINS8_14TensorAccessorINS3_8ArrayRefIlEET_Lm2ENS7_16DefaultPtrTraitsElEENS_6detail16IndexBoundsCheckILm3ElEESD_Lm3ESE_lEENS9_INSA_ISC_KSD_Lm2ESE_lEESI_SK_Lm3ESE_lEE
    .private_segment_fixed_size: 0
    .sgpr_count:     32
    .sgpr_spill_count: 0
    .symbol:         _ZN2at6native12_GLOBAL__N_136upsample_linear1d_out_frame_backwardIN3c104HalfEfEEviT0_bN5torch10headeronly6detail27GenericPackedTensorAccessorINS8_14TensorAccessorINS3_8ArrayRefIlEET_Lm2ENS7_16DefaultPtrTraitsElEENS_6detail16IndexBoundsCheckILm3ElEESD_Lm3ESE_lEENS9_INSA_ISC_KSD_Lm2ESE_lEESI_SK_Lm3ESE_lEE.kd
    .uniform_work_group_size: 1
    .uses_dynamic_stack: false
    .vgpr_count:     23
    .vgpr_spill_count: 0
    .wavefront_size: 64
  - .args:
      - .offset:         0
        .size:           4
        .value_kind:     by_value
      - .offset:         4
        .size:           4
        .value_kind:     by_value
      - .offset:         8
        .size:           1
        .value_kind:     by_value
      - .offset:         16
        .size:           56
        .value_kind:     by_value
      - .offset:         72
        .size:           56
        .value_kind:     by_value
      - .offset:         128
        .size:           4
        .value_kind:     hidden_block_count_x
      - .offset:         132
        .size:           4
        .value_kind:     hidden_block_count_y
      - .offset:         136
        .size:           4
        .value_kind:     hidden_block_count_z
      - .offset:         140
        .size:           2
        .value_kind:     hidden_group_size_x
      - .offset:         142
        .size:           2
        .value_kind:     hidden_group_size_y
      - .offset:         144
        .size:           2
        .value_kind:     hidden_group_size_z
      - .offset:         146
        .size:           2
        .value_kind:     hidden_remainder_x
      - .offset:         148
        .size:           2
        .value_kind:     hidden_remainder_y
      - .offset:         150
        .size:           2
        .value_kind:     hidden_remainder_z
      - .offset:         168
        .size:           8
        .value_kind:     hidden_global_offset_x
      - .offset:         176
        .size:           8
        .value_kind:     hidden_global_offset_y
      - .offset:         184
        .size:           8
        .value_kind:     hidden_global_offset_z
      - .offset:         192
        .size:           2
        .value_kind:     hidden_grid_dims
    .group_segment_fixed_size: 0
    .kernarg_segment_align: 8
    .kernarg_segment_size: 384
    .language:       OpenCL C
    .language_version:
      - 2
      - 0
    .max_flat_workgroup_size: 512
    .name:           _ZN2at6native12_GLOBAL__N_136upsample_linear1d_out_frame_backwardIN3c108BFloat16EfEEviT0_bN5torch10headeronly6detail27GenericPackedTensorAccessorINS8_14TensorAccessorINS3_8ArrayRefIlEET_Lm2ENS7_16DefaultPtrTraitsElEENS_6detail16IndexBoundsCheckILm3ElEESD_Lm3ESE_lEENS9_INSA_ISC_KSD_Lm2ESE_lEESI_SK_Lm3ESE_lEE
    .private_segment_fixed_size: 0
    .sgpr_count:     32
    .sgpr_spill_count: 0
    .symbol:         _ZN2at6native12_GLOBAL__N_136upsample_linear1d_out_frame_backwardIN3c108BFloat16EfEEviT0_bN5torch10headeronly6detail27GenericPackedTensorAccessorINS8_14TensorAccessorINS3_8ArrayRefIlEET_Lm2ENS7_16DefaultPtrTraitsElEENS_6detail16IndexBoundsCheckILm3ElEESD_Lm3ESE_lEENS9_INSA_ISC_KSD_Lm2ESE_lEESI_SK_Lm3ESE_lEE.kd
    .uniform_work_group_size: 1
    .uses_dynamic_stack: false
    .vgpr_count:     26
    .vgpr_spill_count: 0
    .wavefront_size: 64
amdhsa.target:   amdgcn-amd-amdhsa--gfx906
amdhsa.version:
  - 1
  - 2
...

	.end_amdgpu_metadata
